;; amdgpu-corpus repo=zjin-lcf/HeCBench kind=compiled arch=gfx90a opt=O3
	.text
	.amdgcn_target "amdgcn-amd-amdhsa--gfx90a"
	.amdhsa_code_object_version 6
	.protected	_Z7kernel1iiiiiiiiiiiiddPKdS0_S0_S0_S0_PdS0_S0_S0_S0_S0_S0_S0_ ; -- Begin function _Z7kernel1iiiiiiiiiiiiddPKdS0_S0_S0_S0_PdS0_S0_S0_S0_S0_S0_S0_
	.globl	_Z7kernel1iiiiiiiiiiiiddPKdS0_S0_S0_S0_PdS0_S0_S0_S0_S0_S0_S0_
	.p2align	8
	.type	_Z7kernel1iiiiiiiiiiiiddPKdS0_S0_S0_S0_PdS0_S0_S0_S0_S0_S0_S0_,@function
_Z7kernel1iiiiiiiiiiiiddPKdS0_S0_S0_S0_PdS0_S0_S0_S0_S0_S0_S0_: ; @_Z7kernel1iiiiiiiiiiiiddPKdS0_S0_S0_S0_PdS0_S0_S0_S0_S0_S0_S0_
; %bb.0:
	s_mov_b64 s[54:55], s[2:3]
	s_mov_b64 s[52:53], s[0:1]
	s_load_dwordx8 s[24:31], s[4:5], 0x0
	s_load_dwordx2 s[0:1], s[4:5], 0xb4
	s_add_u32 s52, s52, s9
	s_addc_u32 s53, s53, 0
	v_and_b32_e32 v52, 0x3ff, v0
	v_bfe_u32 v49, v0, 10, 10
	s_waitcnt lgkmcnt(0)
	s_and_b32 s1, s1, 0xffff
	s_lshr_b32 s2, s0, 16
	s_and_b32 s0, s0, 0xffff
	v_add_u32_e32 v66, s24, v52
	s_mul_i32 s33, s6, s0
	v_add_u32_e32 v62, s26, v49
	s_mul_i32 s40, s7, s2
	s_mul_i32 s0, s8, s1
	v_add_u32_e32 v8, s33, v66
	v_add_u32_e32 v67, s40, v62
	s_add_i32 s0, s0, s28
	v_bfe_u32 v0, v0, 20, 10
	v_add_u32_e32 v48, s0, v0
	v_cmp_gt_i32_e32 vcc, s25, v8
	v_cmp_gt_i32_e64 s[0:1], s27, v67
	s_and_b64 s[0:1], vcc, s[0:1]
	v_cmp_gt_i32_e32 vcc, s29, v48
	s_and_b64 s[0:1], s[0:1], vcc
	s_and_saveexec_b64 s[2:3], s[0:1]
	s_cbranch_execz .LBB0_12
; %bb.1:
	s_load_dwordx4 s[16:19], s[4:5], 0x98
	s_load_dwordx8 s[8:15], s[4:5], 0x40
	s_load_dwordx4 s[0:3], s[4:5], 0x20
	s_sub_i32 s28, s31, s30
	s_not_b32 s27, s28
	s_add_i32 s28, s28, 1
	v_subrev_u32_e32 v0, s30, v8
	s_waitcnt lgkmcnt(0)
	s_sub_i32 s41, s1, s0
	s_add_i32 s41, s41, 1
	s_mul_i32 s25, s41, s28
	s_mul_i32 s6, s25, s2
	;; [unrolled: 1-line block ×3, first 2 shown]
	s_add_i32 s6, s6, s30
	s_sub_i32 s6, s27, s6
	v_add_u32_e32 v17, s6, v8
	v_mul_lo_u32 v9, v67, s28
	v_ashrrev_i32_e32 v1, 31, v0
	v_add_u32_e32 v54, v9, v17
	v_mul_lo_u32 v18, v48, s25
	v_lshlrev_b64 v[0:1], 3, v[0:1]
	v_add_u32_e32 v12, v54, v18
	v_add_co_u32_e32 v10, vcc, s16, v0
	v_mov_b32_e32 v0, s17
	v_subrev_u32_e32 v4, s0, v67
	v_ashrrev_i32_e32 v13, 31, v12
	v_addc_co_u32_e32 v11, vcc, v0, v1, vcc
	v_ashrrev_i32_e32 v5, 31, v4
	v_lshlrev_b64 v[24:25], 3, v[12:13]
	v_add_u32_e32 v12, -2, v8
	v_add3_u32 v16, v18, v9, s6
	global_load_dwordx4 v[0:3], v[10:11], off
	global_load_dwordx4 v[120:123], v[10:11], off offset:-16
	v_lshlrev_b64 v[4:5], 3, v[4:5]
	buffer_store_dword v12, off, s[52:55], 0 offset:72 ; 4-byte Folded Spill
	v_add_u32_e32 v12, v16, v12
	v_add_co_u32_e32 v34, vcc, s18, v4
	v_mov_b32_e32 v4, s19
	v_ashrrev_i32_e32 v13, 31, v12
	v_addc_co_u32_e32 v35, vcc, v4, v5, vcc
	v_lshlrev_b64 v[12:13], 3, v[12:13]
	s_sub_i32 s7, s3, s2
	v_add_co_u32_e32 v14, vcc, s10, v12
	v_mov_b32_e32 v19, s11
	s_add_i32 s7, s7, 1
	v_addc_co_u32_e32 v15, vcc, v19, v13, vcc
	s_mul_i32 s29, s7, s25
	v_add_co_u32_e32 v12, vcc, s12, v12
	v_mov_b32_e32 v20, s13
	s_sub_i32 s39, s6, s29
	v_addc_co_u32_e32 v13, vcc, v20, v13, vcc
	s_ashr_i32 s6, s39, 31
	global_load_dwordx2 v[126:127], v[14:15], off
	v_ashrrev_i32_e32 v14, 31, v8
	v_add_co_u32_e32 v15, vcc, s39, v8
	v_mov_b32_e32 v21, s6
	v_addc_co_u32_e32 v14, vcc, v14, v21, vcc
	global_load_dwordx2 v[58:59], v[12:13], off
	v_ashrrev_i32_e32 v13, 31, v9
	v_add_co_u32_e32 v15, vcc, v15, v9
	v_addc_co_u32_e32 v13, vcc, v14, v13, vcc
	v_ashrrev_i32_e32 v12, 31, v18
	v_add_co_u32_e32 v14, vcc, v15, v18
	s_ashr_i32 s34, s29, 31
	v_addc_co_u32_e32 v13, vcc, v13, v12, vcc
	v_add_co_u32_e32 v12, vcc, s29, v14
	v_mov_b32_e32 v14, s34
	v_addc_co_u32_e32 v13, vcc, v13, v14, vcc
	v_lshlrev_b64 v[12:13], 3, v[12:13]
	v_add_co_u32_e32 v12, vcc, s14, v12
	v_mov_b32_e32 v21, s15
	v_addc_co_u32_e32 v13, vcc, v21, v13, vcc
	global_load_dwordx4 v[112:115], v[12:13], off offset:-16
	v_add_u32_e32 v12, -1, v8
	v_add_u32_e32 v22, v16, v12
	v_ashrrev_i32_e32 v23, 31, v22
	v_lshlrev_b64 v[22:23], 3, v[22:23]
	v_add_co_u32_e32 v26, vcc, s10, v22
	v_addc_co_u32_e32 v27, vcc, v19, v23, vcc
	v_add_co_u32_e32 v22, vcc, s12, v22
	v_addc_co_u32_e32 v23, vcc, v20, v23, vcc
	v_add_u32_e32 v29, s39, v8
	buffer_store_dword v12, off, s[52:55], 0 offset:80 ; 4-byte Folded Spill
	global_load_dwordx2 v[12:13], v[22:23], off
	v_add_co_u32_e32 v22, vcc, s10, v24
	v_add_u32_e32 v30, v9, v29
	v_addc_co_u32_e32 v23, vcc, v19, v25, vcc
	v_add_u32_e32 v28, v30, v18
	global_load_dwordx2 v[64:65], v[26:27], off
	global_load_dwordx2 v[38:39], v[22:23], off
	v_add_u32_e32 v26, s29, v28
	v_add_co_u32_e32 v22, vcc, s12, v24
	v_ashrrev_i32_e32 v27, 31, v26
	v_add_u32_e32 v9, 1, v8
	v_addc_co_u32_e32 v23, vcc, v20, v25, vcc
	v_lshlrev_b64 v[40:41], 3, v[26:27]
	v_add_u32_e32 v32, v16, v9
	v_add_co_u32_e32 v26, vcc, s14, v40
	v_ashrrev_i32_e32 v33, 31, v32
	v_addc_co_u32_e32 v27, vcc, v21, v41, vcc
	v_lshlrev_b64 v[32:33], 3, v[32:33]
	v_add_co_u32_e32 v36, vcc, s10, v32
	v_add_u32_e32 v8, 2, v8
	v_addc_co_u32_e32 v37, vcc, v19, v33, vcc
	buffer_store_dword v8, off, s[52:55], 0 offset:96 ; 4-byte Folded Spill
	v_add_u32_e32 v8, v16, v8
	buffer_store_dword v9, off, s[52:55], 0 offset:88 ; 4-byte Folded Spill
	v_add_co_u32_e32 v32, vcc, s12, v32
	v_ashrrev_i32_e32 v9, 31, v8
	v_addc_co_u32_e32 v33, vcc, v20, v33, vcc
	v_lshlrev_b64 v[8:9], 3, v[8:9]
	global_load_dwordx2 v[14:15], v[32:33], off
	v_add_co_u32_e32 v32, vcc, s10, v8
	v_addc_co_u32_e32 v33, vcc, v19, v9, vcc
	v_add_co_u32_e32 v8, vcc, s12, v8
	v_addc_co_u32_e32 v9, vcc, v20, v9, vcc
	global_load_dwordx4 v[4:7], v[34:35], off
	global_load_dwordx4 v[116:119], v[26:27], off
	global_load_dwordx2 v[106:107], v[36:37], off
	global_load_dwordx2 v[60:61], v[32:33], off
	v_add_co_u32_e32 v36, vcc, s8, v40
	global_load_dwordx2 v[22:23], v[22:23], off
	s_nop 0
	global_load_dwordx2 v[70:71], v[8:9], off
	global_load_dwordx2 v[124:125], v[26:27], off offset:16
	global_load_dwordx2 v[102:103], v[10:11], off offset:16
	s_nop 0
	buffer_store_dword v40, off, s[52:55], 0 offset:296 ; 4-byte Folded Spill
	s_nop 0
	buffer_store_dword v41, off, s[52:55], 0 offset:300 ; 4-byte Folded Spill
	v_mov_b32_e32 v16, s9
	s_waitcnt vmcnt(22)
	v_div_scale_f64 v[50:51], s[6:7], v[0:1], v[0:1], 1.0
	v_rcp_f64_e32 v[56:57], v[50:51]
	s_lshl_b32 s35, s29, 1
	v_add_u32_e32 v78, s35, v28
	v_ashrrev_i32_e32 v79, 31, v78
	s_ashr_i32 s36, s35, 31
	s_mul_i32 s37, s29, 3
	s_ashr_i32 s38, s37, 31
	s_load_dwordx8 s[16:23], s[4:5], 0x60
	s_lshl_b32 s44, s1, 1
	s_lshl_b32 s46, s3, 1
	s_mul_i32 s47, s2, 3
	s_lshl_b32 s45, s0, 1
	s_sub_i32 s46, s46, s47
	s_add_i32 s46, s46, 2
	s_mul_i32 s46, s46, s41
	s_lshl_b32 s48, s2, 2
	s_add_i32 s1, s26, s1
	s_sub_i32 s42, 0, s30
	s_lshl_b32 s43, s25, 1
	s_waitcnt vmcnt(9)
	v_div_scale_f64 v[26:27], s[6:7], v[4:5], v[4:5], 1.0
	v_rcp_f64_e32 v[32:33], v[26:27]
	s_mov_b32 s6, 0x55555555
	s_mov_b32 s7, 0x3fc55555
	v_fma_f64 v[44:45], -v[26:27], v[32:33], 1.0
	v_addc_co_u32_e32 v37, vcc, v16, v41, vcc
	global_load_dwordx4 v[8:11], v[36:37], off
	global_load_dwordx4 v[40:43], v[36:37], off offset:-16
	s_nop 0
	buffer_store_dword v58, off, s[52:55], 0 offset:428 ; 4-byte Folded Spill
	s_nop 0
	buffer_store_dword v59, off, s[52:55], 0 offset:432 ; 4-byte Folded Spill
	v_fmac_f64_e32 v[32:33], v[32:33], v[44:45]
	v_fma_f64 v[44:45], -v[26:27], v[32:33], 1.0
	v_fmac_f64_e32 v[32:33], v[32:33], v[44:45]
	v_div_scale_f64 v[44:45], vcc, 1.0, v[4:5], 1.0
	v_mul_f64 v[46:47], v[44:45], v[32:33]
	v_fma_f64 v[26:27], -v[26:27], v[46:47], v[44:45]
	s_waitcnt vmcnt(9)
	v_fmac_f64_e32 v[22:23], 2.0, v[38:39]
	v_div_fmas_f64 v[26:27], v[26:27], v[32:33], v[46:47]
	v_fma_f64 v[32:33], -v[50:51], v[56:57], 1.0
	v_fmac_f64_e32 v[56:57], v[56:57], v[32:33]
	v_fma_f64 v[32:33], -v[50:51], v[56:57], 1.0
	v_fmac_f64_e32 v[56:57], v[56:57], v[32:33]
	v_div_scale_f64 v[32:33], vcc, 1.0, v[0:1], 1.0
	v_mul_f64 v[44:45], v[32:33], v[56:57]
	v_fma_f64 v[32:33], -v[50:51], v[44:45], v[32:33]
	v_mul_f64 v[22:23], v[22:23], v[116:117]
	s_nop 0
	v_div_fmas_f64 v[32:33], v[32:33], v[56:57], v[44:45]
	v_mul_f64 v[22:23], v[116:117], v[22:23]
	v_mul_f64 v[56:57], v[0:1], v[22:23]
	;; [unrolled: 1-line block ×3, first 2 shown]
	s_waitcnt vmcnt(3)
	v_add_f64 v[10:11], v[10:11], -v[8:9]
	v_fma_f64 v[44:45], 2.0, v[126:127], v[58:59]
	buffer_store_dword v44, off, s[52:55], 0 offset:688 ; 4-byte Folded Spill
	s_nop 0
	buffer_store_dword v45, off, s[52:55], 0 offset:692 ; 4-byte Folded Spill
	buffer_store_dword v12, off, s[52:55], 0 offset:440 ; 4-byte Folded Spill
	s_nop 0
	buffer_store_dword v13, off, s[52:55], 0 offset:444 ; 4-byte Folded Spill
	s_waitcnt vmcnt(6)
	v_add_f64 v[40:41], v[40:41], -v[8:9]
	v_mul_f64 v[44:45], v[44:45], v[112:113]
	v_fma_f64 v[12:13], 2.0, v[64:65], v[12:13]
	buffer_store_dword v12, off, s[52:55], 0 offset:672 ; 4-byte Folded Spill
	s_nop 0
	buffer_store_dword v13, off, s[52:55], 0 offset:676 ; 4-byte Folded Spill
	buffer_store_dword v14, off, s[52:55], 0 offset:496 ; 4-byte Folded Spill
	s_nop 0
	buffer_store_dword v15, off, s[52:55], 0 offset:500 ; 4-byte Folded Spill
	v_mul_f64 v[44:45], v[112:113], v[44:45]
	v_fma_f64 v[72:73], v[120:121], v[44:45], v[56:57]
	v_mul_f64 v[46:47], v[12:13], v[114:115]
	v_fma_f64 v[12:13], 2.0, v[106:107], v[14:15]
	buffer_store_dword v12, off, s[52:55], 0 offset:552 ; 4-byte Folded Spill
	s_nop 0
	buffer_store_dword v13, off, s[52:55], 0 offset:556 ; 4-byte Folded Spill
	buffer_store_dword v70, off, s[52:55], 0 offset:528 ; 4-byte Folded Spill
	s_nop 0
	buffer_store_dword v71, off, s[52:55], 0 offset:532 ; 4-byte Folded Spill
	v_mul_f64 v[46:47], v[114:115], v[46:47]
	v_mul_f64 v[50:51], v[122:123], v[46:47]
	v_fma_f64 v[46:47], v[122:123], v[46:47], v[56:57]
	v_pk_mov_b32 v[74:75], v[50:51], v[50:51] op_sel:[0,1]
	v_fmac_f64_e32 v[74:75], 0xbfe80000, v[72:73]
	v_mul_f64 v[58:59], v[12:13], v[118:119]
	v_fma_f64 v[12:13], 2.0, v[60:61], v[70:71]
	buffer_store_dword v12, off, s[52:55], 0 offset:624 ; 4-byte Folded Spill
	s_nop 0
	buffer_store_dword v13, off, s[52:55], 0 offset:628 ; 4-byte Folded Spill
	v_mul_f64 v[58:59], v[118:119], v[58:59]
	v_mul_f64 v[68:69], v[2:3], v[58:59]
	v_fma_f64 v[44:45], v[120:121], v[44:45], v[68:69]
	v_fmac_f64_e32 v[44:45], 0x40080000, v[46:47]
	v_fma_f64 v[46:47], v[2:3], v[58:59], v[56:57]
	v_mul_f64 v[70:71], v[12:13], v[124:125]
	v_mul_f64 v[70:71], v[124:125], v[70:71]
	v_fmac_f64_e32 v[50:51], v[102:103], v[70:71]
	v_fmac_f64_e32 v[50:51], 0x40080000, v[46:47]
	global_load_dwordx2 v[46:47], v[36:37], off offset:16
	v_add_f64 v[36:37], v[42:43], -v[8:9]
	v_mul_f64 v[36:37], v[44:45], v[36:37]
	v_fmac_f64_e32 v[36:37], v[74:75], v[40:41]
	v_fmac_f64_e32 v[36:37], v[50:51], v[10:11]
	v_add_u32_e32 v10, -2, v67
	v_mul_lo_u32 v31, v10, s28
	v_add_u32_e32 v53, s28, v31
	v_add3_u32 v82, v53, v29, v18
	v_add_u32_e32 v40, s29, v82
	v_lshl_add_u32 v63, s28, 1, v53
	v_ashrrev_i32_e32 v41, 31, v40
	v_add3_u32 v85, v63, v29, v18
	v_add3_u32 v83, v31, v29, v18
	v_lshlrev_b64 v[44:45], 3, v[40:41]
	v_add_u32_e32 v40, s29, v85
	v_add_u32_e32 v84, s28, v63
	;; [unrolled: 1-line block ×3, first 2 shown]
	v_ashrrev_i32_e32 v41, 31, v40
	v_add3_u32 v29, v84, v29, v18
	v_ashrrev_i32_e32 v11, 31, v10
	v_lshlrev_b64 v[50:51], 3, v[40:41]
	v_add_u32_e32 v40, s29, v29
	v_lshlrev_b64 v[10:11], 3, v[10:11]
	v_ashrrev_i32_e32 v41, 31, v40
	v_fmac_f64_e32 v[56:57], v[102:103], v[70:71]
	v_lshlrev_b64 v[70:71], 3, v[40:41]
	v_add_co_u32_e32 v40, vcc, s8, v10
	v_addc_co_u32_e32 v41, vcc, v16, v11, vcc
	v_add_co_u32_e32 v42, vcc, s8, v44
	v_addc_co_u32_e32 v43, vcc, v16, v45, vcc
	v_fmac_f64_e32 v[68:69], 0xbfe80000, v[56:57]
	v_add_co_u32_e32 v56, vcc, s8, v50
	v_addc_co_u32_e32 v57, vcc, v16, v51, vcc
	global_load_dwordx2 v[40:41], v[40:41], off
	v_add_co_u32_e32 v58, vcc, s8, v70
	global_load_dwordx2 v[42:43], v[42:43], off
	v_addc_co_u32_e32 v59, vcc, v16, v71, vcc
	global_load_dwordx2 v[56:57], v[56:57], off
	v_add_u32_e32 v55, v18, v31
	global_load_dwordx2 v[58:59], v[58:59], off
	v_add_u32_e32 v31, v18, v53
	v_add_u32_e32 v53, v18, v63
	;; [unrolled: 1-line block ×3, first 2 shown]
	v_ashrrev_i32_e32 v75, 31, v74
	v_lshlrev_b64 v[74:75], 3, v[74:75]
	v_lshlrev_b64 v[12:13], 3, v[78:79]
	v_add_u32_e32 v63, v18, v84
	s_waitcnt vmcnt(4)
	v_add_f64 v[46:47], v[46:47], -v[8:9]
	v_fmac_f64_e32 v[36:37], v[68:69], v[46:47]
	v_add_u32_e32 v46, v55, v17
	v_ashrrev_i32_e32 v47, 31, v46
	v_add_co_u32_e32 v68, vcc, s14, v10
	v_lshlrev_b64 v[46:47], 3, v[46:47]
	v_addc_co_u32_e32 v69, vcc, v21, v11, vcc
	v_add_co_u32_e32 v72, vcc, s10, v46
	v_addc_co_u32_e32 v73, vcc, v19, v47, vcc
	v_add_co_u32_e32 v44, vcc, s14, v44
	;; [unrolled: 2-line block ×4, first 2 shown]
	v_addc_co_u32_e32 v47, vcc, v20, v47, vcc
	s_waitcnt vmcnt(3)
	v_add_f64 v[40:41], v[40:41], -v[8:9]
	s_waitcnt vmcnt(2)
	v_add_f64 v[42:43], v[42:43], -v[8:9]
	;; [unrolled: 2-line block ×3, first 2 shown]
	v_add_u32_e32 v56, v31, v17
	v_ashrrev_i32_e32 v57, 31, v56
	v_lshlrev_b64 v[56:57], 3, v[56:57]
	s_waitcnt vmcnt(0)
	v_add_f64 v[8:9], v[58:59], -v[8:9]
	v_add_co_u32_e32 v58, vcc, s10, v56
	v_addc_co_u32_e32 v59, vcc, v19, v57, vcc
	v_add_co_u32_e32 v56, vcc, s12, v56
	v_addc_co_u32_e32 v57, vcc, v20, v57, vcc
	global_load_dwordx2 v[94:95], v[72:73], off
	s_nop 0
	global_load_dwordx2 v[72:73], v[46:47], off
	global_load_dwordx2 v[96:97], v[68:69], off
	;; [unrolled: 1-line block ×3, first 2 shown]
	s_nop 0
	global_load_dwordx2 v[46:47], v[56:57], off
	global_load_dwordx2 v[88:89], v[44:45], off
	s_waitcnt vmcnt(4)
	buffer_store_dword v72, off, s[52:55], 0 offset:40 ; 4-byte Folded Spill
	s_nop 0
	buffer_store_dword v73, off, s[52:55], 0 offset:44 ; 4-byte Folded Spill
	v_add_co_u32_e32 v76, vcc, s10, v74
	v_addc_co_u32_e32 v77, vcc, v19, v75, vcc
	v_add_co_u32_e32 v74, vcc, s12, v74
	v_addc_co_u32_e32 v75, vcc, v20, v75, vcc
	v_add_co_u32_e32 v80, vcc, s8, v12
	v_fma_f64 v[44:45], 2.0, v[94:95], v[72:73]
	buffer_store_dword v44, off, s[52:55], 0 offset:380 ; 4-byte Folded Spill
	s_nop 0
	buffer_store_dword v45, off, s[52:55], 0 offset:384 ; 4-byte Folded Spill
	s_waitcnt vmcnt(5)
	buffer_store_dword v46, off, s[52:55], 0 offset:32 ; 4-byte Folded Spill
	s_nop 0
	buffer_store_dword v47, off, s[52:55], 0 offset:36 ; 4-byte Folded Spill
	v_mul_f64 v[44:45], v[96:97], v[44:45]
	v_fma_f64 v[46:47], 2.0, v[86:87], v[46:47]
	buffer_store_dword v46, off, s[52:55], 0 offset:368 ; 4-byte Folded Spill
	s_nop 0
	buffer_store_dword v47, off, s[52:55], 0 offset:372 ; 4-byte Folded Spill
	global_load_dwordx4 v[90:93], v[34:35], off offset:-16
	v_mul_f64 v[44:45], v[96:97], v[44:45]
	s_waitcnt vmcnt(9)
	v_mul_f64 v[46:47], v[88:89], v[46:47]
	v_mul_f64 v[46:47], v[88:89], v[46:47]
	s_waitcnt vmcnt(0)
	v_mul_f64 v[68:69], v[92:93], v[46:47]
	v_fma_f64 v[56:57], v[90:91], v[44:45], v[22:23]
	v_pk_mov_b32 v[72:73], v[68:69], v[68:69] op_sel:[0,1]
	v_fmac_f64_e32 v[72:73], 0xbfe80000, v[56:57]
	global_load_dwordx2 v[98:99], v[76:77], off
	global_load_dwordx2 v[56:57], v[74:75], off
	;; [unrolled: 1-line block ×3, first 2 shown]
	s_waitcnt vmcnt(1)
	buffer_store_dword v56, off, s[52:55], 0 offset:48 ; 4-byte Folded Spill
	s_nop 0
	buffer_store_dword v57, off, s[52:55], 0 offset:52 ; 4-byte Folded Spill
	v_fma_f64 v[46:47], v[92:93], v[46:47], v[22:23]
	v_fma_f64 v[50:51], 2.0, v[98:99], v[56:57]
	buffer_store_dword v50, off, s[52:55], 0 offset:388 ; 4-byte Folded Spill
	s_nop 0
	buffer_store_dword v51, off, s[52:55], 0 offset:392 ; 4-byte Folded Spill
	buffer_store_dword v12, off, s[52:55], 0 ; 4-byte Folded Spill
	s_nop 0
	buffer_store_dword v13, off, s[52:55], 0 offset:4 ; 4-byte Folded Spill
	buffer_store_dword v82, off, s[52:55], 0 offset:376 ; 4-byte Folded Spill
	s_waitcnt vmcnt(7)
	v_mul_f64 v[50:51], v[100:101], v[50:51]
	v_mul_f64 v[74:75], v[100:101], v[50:51]
	;; [unrolled: 1-line block ×3, first 2 shown]
	v_fma_f64 v[44:45], v[90:91], v[44:45], v[76:77]
	v_fmac_f64_e32 v[44:45], 0x40080000, v[46:47]
	v_add_u32_e32 v46, s35, v82
	v_ashrrev_i32_e32 v47, 31, v46
	v_addc_co_u32_e32 v81, vcc, v16, v13, vcc
	v_lshlrev_b64 v[12:13], 3, v[46:47]
	v_add_co_u32_e32 v50, vcc, s8, v12
	buffer_store_dword v12, off, s[52:55], 0 offset:544 ; 4-byte Folded Spill
	s_nop 0
	buffer_store_dword v13, off, s[52:55], 0 offset:548 ; 4-byte Folded Spill
	v_addc_co_u32_e32 v51, vcc, v16, v13, vcc
	global_load_dwordx2 v[50:51], v[50:51], off
	s_nop 0
	global_load_dwordx4 v[56:59], v[80:81], off offset:-8
	s_waitcnt vmcnt(0)
	v_add_f64 v[50:51], v[50:51], -v[58:59]
	v_mul_f64 v[44:45], v[50:51], v[44:45]
	v_add_u32_e32 v50, s35, v83
	v_ashrrev_i32_e32 v51, 31, v50
	v_lshlrev_b64 v[12:13], 3, v[50:51]
	buffer_store_dword v83, off, s[52:55], 0 offset:416 ; 4-byte Folded Spill
	v_add_co_u32_e32 v82, vcc, s8, v12
	buffer_store_dword v12, off, s[52:55], 0 offset:560 ; 4-byte Folded Spill
	s_nop 0
	buffer_store_dword v13, off, s[52:55], 0 offset:564 ; 4-byte Folded Spill
	v_addc_co_u32_e32 v83, vcc, v16, v13, vcc
	global_load_dwordx2 v[82:83], v[82:83], off
	v_add_co_u32_e32 v70, vcc, s14, v70
	v_addc_co_u32_e32 v71, vcc, v21, v71, vcc
	s_waitcnt vmcnt(0)
	v_add_f64 v[82:83], v[82:83], -v[58:59]
	v_fmac_f64_e32 v[44:45], v[82:83], v[72:73]
	v_add_u32_e32 v72, v63, v17
	v_ashrrev_i32_e32 v73, 31, v72
	v_lshlrev_b64 v[72:73], 3, v[72:73]
	v_add_co_u32_e32 v18, vcc, s10, v72
	v_addc_co_u32_e32 v19, vcc, v19, v73, vcc
	v_add_co_u32_e32 v72, vcc, s12, v72
	v_addc_co_u32_e32 v73, vcc, v20, v73, vcc
	global_load_dwordx2 v[108:109], v[18:19], off
	s_nop 0
	global_load_dwordx2 v[18:19], v[72:73], off
	global_load_dwordx2 v[110:111], v[70:71], off
	global_load_dwordx2 v[104:105], v[34:35], off offset:16
	s_waitcnt vmcnt(2)
	buffer_store_dword v18, off, s[52:55], 0 offset:64 ; 4-byte Folded Spill
	s_nop 0
	buffer_store_dword v19, off, s[52:55], 0 offset:68 ; 4-byte Folded Spill
	v_add_u32_e32 v34, s35, v85
	v_ashrrev_i32_e32 v35, 31, v34
	v_fma_f64 v[20:21], v[6:7], v[74:75], v[22:23]
	v_lshlrev_b64 v[12:13], 3, v[34:35]
	v_mov_b32_e32 v17, s36
	v_fma_f64 v[18:19], 2.0, v[108:109], v[18:19]
	buffer_store_dword v18, off, s[52:55], 0 offset:420 ; 4-byte Folded Spill
	s_nop 0
	buffer_store_dword v19, off, s[52:55], 0 offset:424 ; 4-byte Folded Spill
	buffer_store_dword v85, off, s[52:55], 0 offset:412 ; 4-byte Folded Spill
	s_waitcnt vmcnt(6)
	v_mul_f64 v[18:19], v[110:111], v[18:19]
	v_mul_f64 v[18:19], v[110:111], v[18:19]
	s_waitcnt vmcnt(5)
	v_fmac_f64_e32 v[68:69], v[104:105], v[18:19]
	v_fmac_f64_e32 v[68:69], 0x40080000, v[20:21]
	v_add_co_u32_e32 v20, vcc, s8, v12
	buffer_store_dword v12, off, s[52:55], 0 offset:576 ; 4-byte Folded Spill
	s_nop 0
	buffer_store_dword v13, off, s[52:55], 0 offset:580 ; 4-byte Folded Spill
	v_fmac_f64_e32 v[22:23], v[104:105], v[18:19]
	v_fmac_f64_e32 v[76:77], 0xbfe80000, v[22:23]
	v_add_u32_e32 v22, s35, v29
	v_ashrrev_i32_e32 v23, 31, v22
	buffer_store_dword v29, off, s[52:55], 0 offset:436 ; 4-byte Folded Spill
	v_addc_co_u32_e32 v21, vcc, v16, v13, vcc
	v_lshlrev_b64 v[12:13], 3, v[22:23]
	global_load_dwordx2 v[20:21], v[20:21], off
	v_add_co_u32_e32 v18, vcc, s8, v12
	buffer_store_dword v12, off, s[52:55], 0 offset:608 ; 4-byte Folded Spill
	s_nop 0
	buffer_store_dword v13, off, s[52:55], 0 offset:612 ; 4-byte Folded Spill
	s_waitcnt vmcnt(2)
	v_add_f64 v[20:21], v[20:21], -v[58:59]
	v_fmac_f64_e32 v[44:45], v[20:21], v[68:69]
	v_addc_co_u32_e32 v19, vcc, v16, v13, vcc
	global_load_dwordx2 v[18:19], v[18:19], off
	s_nop 0
	buffer_store_dword v126, off, s[52:55], 0 offset:568 ; 4-byte Folded Spill
	s_nop 0
	buffer_store_dword v127, off, s[52:55], 0 offset:572 ; 4-byte Folded Spill
	buffer_store_dword v64, off, s[52:55], 0 offset:600 ; 4-byte Folded Spill
	s_nop 0
	buffer_store_dword v65, off, s[52:55], 0 offset:604 ; 4-byte Folded Spill
	v_pk_mov_b32 v[12:13], v[118:119], v[118:119] op_sel:[0,1]
	s_waitcnt vmcnt(4)
	v_add_f64 v[18:19], v[18:19], -v[58:59]
	v_fmac_f64_e32 v[44:45], v[18:19], v[76:77]
	v_mul_f64 v[18:19], v[38:39], v[116:117]
	v_mul_f64 v[38:39], v[116:117], v[18:19]
	;; [unrolled: 1-line block ×5, first 2 shown]
	buffer_store_dword v112, off, s[52:55], 0 offset:448 ; 4-byte Folded Spill
	s_nop 0
	buffer_store_dword v113, off, s[52:55], 0 offset:452 ; 4-byte Folded Spill
	buffer_store_dword v114, off, s[52:55], 0 offset:456 ; 4-byte Folded Spill
	;; [unrolled: 1-line block ×4, first 2 shown]
	s_nop 0
	buffer_store_dword v107, off, s[52:55], 0 offset:508 ; 4-byte Folded Spill
	v_mul_f64 v[70:71], v[0:1], v[38:39]
	buffer_store_dword v10, off, s[52:55], 0 offset:480 ; 4-byte Folded Spill
	s_nop 0
	buffer_store_dword v11, off, s[52:55], 0 offset:484 ; 4-byte Folded Spill
	buffer_store_dword v12, off, s[52:55], 0 offset:488 ; 4-byte Folded Spill
	;; [unrolled: 1-line block ×3, first 2 shown]
	v_mov_b32_e32 v112, v28
	v_ashrrev_i32_e32 v113, 31, v112
	v_mul_f64 v[38:39], v[4:5], v[38:39]
	v_mul_f64 v[14:15], v[114:115], v[18:19]
	v_fma_f64 v[18:19], v[120:121], v[20:21], v[70:71]
	buffer_store_dword v20, off, s[52:55], 0 offset:640 ; 4-byte Folded Spill
	s_nop 0
	buffer_store_dword v21, off, s[52:55], 0 offset:644 ; 4-byte Folded Spill
	v_mul_f64 v[68:69], v[122:123], v[14:15]
	v_pk_mov_b32 v[72:73], v[68:69], v[68:69] op_sel:[0,1]
	v_fmac_f64_e32 v[72:73], 0xbfe80000, v[18:19]
	v_mul_f64 v[18:19], v[106:107], v[118:119]
	v_mul_f64 v[12:13], v[118:119], v[18:19]
	;; [unrolled: 1-line block ×3, first 2 shown]
	v_fma_f64 v[76:77], v[120:121], v[20:21], v[74:75]
	buffer_store_dword v120, off, s[52:55], 0 offset:512 ; 4-byte Folded Spill
	s_nop 0
	buffer_store_dword v121, off, s[52:55], 0 offset:516 ; 4-byte Folded Spill
	buffer_store_dword v122, off, s[52:55], 0 offset:520 ; 4-byte Folded Spill
	;; [unrolled: 1-line block ×4, first 2 shown]
	s_nop 0
	buffer_store_dword v15, off, s[52:55], 0 offset:620 ; 4-byte Folded Spill
	v_fma_f64 v[18:19], v[122:123], v[14:15], v[70:71]
	v_fmac_f64_e32 v[76:77], 0x40080000, v[18:19]
	v_add_co_u32_e32 v18, vcc, s35, v112
	v_addc_co_u32_e32 v19, vcc, v113, v17, vcc
	v_lshlrev_b64 v[18:19], 3, v[18:19]
	v_add_co_u32_e32 v82, vcc, s8, v18
	v_addc_co_u32_e32 v83, vcc, v16, v19, vcc
	global_load_dwordx4 v[18:21], v[80:81], off offset:8
	v_mov_b32_e32 v17, s38
	s_waitcnt vmcnt(0)
	v_add_f64 v[80:81], v[18:19], -v[58:59]
	global_load_dwordx2 v[18:19], v[82:83], off offset:-16
	v_add_f64 v[84:85], v[20:21], -v[58:59]
	v_add_f64 v[20:21], v[56:57], -v[58:59]
	v_mul_f64 v[82:83], v[76:77], v[20:21]
	s_waitcnt vmcnt(0)
	v_add_f64 v[18:19], v[18:19], -v[58:59]
	v_fmac_f64_e32 v[82:83], v[72:73], v[18:19]
	v_add_co_u32_e32 v18, vcc, s37, v112
	v_addc_co_u32_e32 v19, vcc, v113, v17, vcc
	v_lshlrev_b64 v[18:19], 3, v[18:19]
	v_add_co_u32_e32 v56, vcc, s8, v18
	v_add_u32_e32 v18, s29, v78
	v_addc_co_u32_e32 v57, vcc, v16, v19, vcc
	v_ashrrev_i32_e32 v19, 31, v18
	v_lshlrev_b64 v[106:107], 3, v[18:19]
	v_add_co_u32_e32 v58, vcc, s8, v106
	v_addc_co_u32_e32 v59, vcc, v16, v107, vcc
	global_load_dwordx4 v[18:21], v[58:59], off offset:-8
	s_nop 0
	global_load_dwordx2 v[56:57], v[56:57], off offset:-16
	s_nop 0
	buffer_store_dword v60, off, s[52:55], 0 offset:584 ; 4-byte Folded Spill
	s_nop 0
	buffer_store_dword v61, off, s[52:55], 0 offset:588 ; 4-byte Folded Spill
	s_waitcnt vmcnt(3)
	v_add_f64 v[18:19], v[18:19], -v[20:21]
	v_mul_f64 v[18:19], v[76:77], v[18:19]
	s_waitcnt vmcnt(2)
	v_add_f64 v[56:57], v[56:57], -v[20:21]
	v_fmac_f64_e32 v[18:19], v[72:73], v[56:57]
	v_mul_f64 v[56:57], v[60:61], v[124:125]
	buffer_store_dword v124, off, s[52:55], 0 offset:536 ; 4-byte Folded Spill
	s_nop 0
	buffer_store_dword v125, off, s[52:55], 0 offset:540 ; 4-byte Folded Spill
	buffer_store_dword v12, off, s[52:55], 0 offset:472 ; 4-byte Folded Spill
	s_nop 0
	buffer_store_dword v13, off, s[52:55], 0 offset:476 ; 4-byte Folded Spill
	v_mov_b32_e32 v76, v48
	v_mul_f64 v[14:15], v[124:125], v[56:57]
	v_fmac_f64_e32 v[68:69], v[102:103], v[14:15]
	v_fma_f64 v[56:57], v[2:3], v[12:13], v[70:71]
	v_fmac_f64_e32 v[68:69], 0x40080000, v[56:57]
	global_load_dwordx4 v[56:59], v[58:59], off offset:8
	s_nop 0
	buffer_store_dword v102, off, s[52:55], 0 offset:592 ; 4-byte Folded Spill
	s_nop 0
	buffer_store_dword v103, off, s[52:55], 0 offset:596 ; 4-byte Folded Spill
	buffer_store_dword v14, off, s[52:55], 0 offset:680 ; 4-byte Folded Spill
	s_nop 0
	buffer_store_dword v15, off, s[52:55], 0 offset:684 ; 4-byte Folded Spill
	buffer_store_dword v94, off, s[52:55], 0 offset:352 ; 4-byte Folded Spill
	s_nop 0
	buffer_store_dword v95, off, s[52:55], 0 offset:356 ; 4-byte Folded Spill
	v_fmac_f64_e32 v[82:83], v[68:69], v[80:81]
	s_waitcnt vmcnt(6)
	v_add_f64 v[56:57], v[56:57], -v[20:21]
	v_fmac_f64_e32 v[70:71], v[102:103], v[14:15]
	v_fmac_f64_e32 v[18:19], v[68:69], v[56:57]
	;; [unrolled: 1-line block ×3, first 2 shown]
	v_add_f64 v[56:57], v[58:59], -v[20:21]
	v_fmac_f64_e32 v[18:19], v[74:75], v[56:57]
	v_mul_f64 v[56:57], v[94:95], v[96:97]
	buffer_store_dword v96, off, s[52:55], 0 offset:16 ; 4-byte Folded Spill
	s_nop 0
	buffer_store_dword v97, off, s[52:55], 0 offset:20 ; 4-byte Folded Spill
	buffer_store_dword v86, off, s[52:55], 0 offset:320 ; 4-byte Folded Spill
	s_nop 0
	buffer_store_dword v87, off, s[52:55], 0 offset:324 ; 4-byte Folded Spill
	v_fmac_f64_e32 v[82:83], v[74:75], v[84:85]
	v_mul_f64 v[60:61], v[96:97], v[56:57]
	v_mul_f64 v[56:57], v[86:87], v[88:89]
	buffer_store_dword v88, off, s[52:55], 0 offset:8 ; 4-byte Folded Spill
	s_nop 0
	buffer_store_dword v89, off, s[52:55], 0 offset:12 ; 4-byte Folded Spill
	buffer_store_dword v98, off, s[52:55], 0 offset:360 ; 4-byte Folded Spill
	s_nop 0
	buffer_store_dword v99, off, s[52:55], 0 offset:364 ; 4-byte Folded Spill
	v_fma_f64 v[58:59], v[90:91], v[60:61], v[38:39]
	v_mul_f64 v[12:13], v[88:89], v[56:57]
	v_mul_f64 v[56:57], v[92:93], v[12:13]
	v_pk_mov_b32 v[68:69], v[56:57], v[56:57] op_sel:[0,1]
	v_fmac_f64_e32 v[68:69], 0xbfe80000, v[58:59]
	v_mul_f64 v[58:59], v[98:99], v[100:101]
	buffer_store_dword v100, off, s[52:55], 0 offset:24 ; 4-byte Folded Spill
	s_nop 0
	buffer_store_dword v101, off, s[52:55], 0 offset:28 ; 4-byte Folded Spill
	buffer_store_dword v60, off, s[52:55], 0 offset:712 ; 4-byte Folded Spill
	s_nop 0
	buffer_store_dword v61, off, s[52:55], 0 offset:716 ; 4-byte Folded Spill
	v_mul_f64 v[14:15], v[100:101], v[58:59]
	v_mul_f64 v[58:59], v[6:7], v[14:15]
	v_fma_f64 v[70:71], v[90:91], v[60:61], v[58:59]
	buffer_store_dword v90, off, s[52:55], 0 offset:336 ; 4-byte Folded Spill
	s_nop 0
	buffer_store_dword v91, off, s[52:55], 0 offset:340 ; 4-byte Folded Spill
	buffer_store_dword v92, off, s[52:55], 0 offset:344 ; 4-byte Folded Spill
	;; [unrolled: 1-line block ×4, first 2 shown]
	s_nop 0
	buffer_store_dword v13, off, s[52:55], 0 offset:700 ; 4-byte Folded Spill
	v_fma_f64 v[72:73], v[92:93], v[12:13], v[38:39]
	v_fmac_f64_e32 v[70:71], 0x40080000, v[72:73]
	v_mul_f64 v[42:43], v[70:71], v[42:43]
	v_fmac_f64_e32 v[42:43], v[68:69], v[40:41]
	v_add_u32_e32 v40, s29, v46
	v_ashrrev_i32_e32 v41, 31, v40
	v_lshlrev_b64 v[12:13], 3, v[40:41]
	v_add_co_u32_e32 v40, vcc, s8, v12
	buffer_store_dword v12, off, s[52:55], 0 offset:632 ; 4-byte Folded Spill
	s_nop 0
	buffer_store_dword v13, off, s[52:55], 0 offset:636 ; 4-byte Folded Spill
	v_add_u32_e32 v46, s29, v50
	v_ashrrev_i32_e32 v47, 31, v46
	v_addc_co_u32_e32 v41, vcc, v16, v13, vcc
	v_lshlrev_b64 v[12:13], 3, v[46:47]
	global_load_dwordx2 v[40:41], v[40:41], off
	v_add_co_u32_e32 v46, vcc, s8, v12
	buffer_store_dword v12, off, s[52:55], 0 offset:648 ; 4-byte Folded Spill
	s_nop 0
	buffer_store_dword v13, off, s[52:55], 0 offset:652 ; 4-byte Folded Spill
	s_waitcnt vmcnt(2)
	v_add_f64 v[40:41], v[40:41], -v[20:21]
	v_mul_f64 v[40:41], v[70:71], v[40:41]
	v_addc_co_u32_e32 v47, vcc, v16, v13, vcc
	global_load_dwordx2 v[46:47], v[46:47], off
	s_nop 0
	buffer_store_dword v108, off, s[52:55], 0 offset:404 ; 4-byte Folded Spill
	s_nop 0
	buffer_store_dword v109, off, s[52:55], 0 offset:408 ; 4-byte Folded Spill
	s_waitcnt vmcnt(2)
	v_add_f64 v[46:47], v[46:47], -v[20:21]
	v_fmac_f64_e32 v[40:41], v[68:69], v[46:47]
	v_mul_f64 v[46:47], v[108:109], v[110:111]
	buffer_store_dword v110, off, s[52:55], 0 offset:56 ; 4-byte Folded Spill
	s_nop 0
	buffer_store_dword v111, off, s[52:55], 0 offset:60 ; 4-byte Folded Spill
	buffer_store_dword v14, off, s[52:55], 0 offset:704 ; 4-byte Folded Spill
	s_nop 0
	buffer_store_dword v15, off, s[52:55], 0 offset:708 ; 4-byte Folded Spill
	v_add_u32_e32 v68, s27, v66
	v_mul_f64 v[50:51], v[110:111], v[46:47]
	v_fmac_f64_e32 v[56:57], v[104:105], v[50:51]
	v_fma_f64 v[46:47], v[6:7], v[14:15], v[38:39]
	v_fmac_f64_e32 v[56:57], 0x40080000, v[46:47]
	v_fmac_f64_e32 v[42:43], v[56:57], v[10:11]
	v_add_u32_e32 v10, s29, v34
	v_ashrrev_i32_e32 v11, 31, v10
	v_lshlrev_b64 v[12:13], 3, v[10:11]
	v_add_co_u32_e32 v10, vcc, s8, v12
	buffer_store_dword v12, off, s[52:55], 0 offset:656 ; 4-byte Folded Spill
	s_nop 0
	buffer_store_dword v13, off, s[52:55], 0 offset:660 ; 4-byte Folded Spill
	v_div_fixup_f64 v[14:15], v[32:33], v[0:1], 1.0
	v_addc_co_u32_e32 v11, vcc, v16, v13, vcc
	global_load_dwordx2 v[10:11], v[10:11], off
	s_waitcnt vmcnt(0)
	v_add_f64 v[10:11], v[10:11], -v[20:21]
	v_fmac_f64_e32 v[40:41], v[56:57], v[10:11]
	v_add_u32_e32 v10, s29, v22
	v_ashrrev_i32_e32 v11, 31, v10
	v_lshlrev_b64 v[12:13], 3, v[10:11]
	v_add_co_u32_e32 v10, vcc, s8, v12
	buffer_store_dword v12, off, s[52:55], 0 offset:664 ; 4-byte Folded Spill
	s_nop 0
	buffer_store_dword v13, off, s[52:55], 0 offset:668 ; 4-byte Folded Spill
	v_div_fixup_f64 v[56:57], v[26:27], v[4:5], 1.0
	v_addc_co_u32_e32 v11, vcc, v16, v13, vcc
	global_load_dwordx2 v[10:11], v[10:11], off
	s_nop 0
	buffer_store_dword v104, off, s[52:55], 0 offset:396 ; 4-byte Folded Spill
	s_nop 0
	buffer_store_dword v105, off, s[52:55], 0 offset:400 ; 4-byte Folded Spill
	buffer_store_dword v50, off, s[52:55], 0 offset:720 ; 4-byte Folded Spill
	s_nop 0
	buffer_store_dword v51, off, s[52:55], 0 offset:724 ; 4-byte Folded Spill
	v_mul_f64 v[12:13], v[14:15], v[56:57]
	v_fmac_f64_e32 v[38:39], v[104:105], v[50:51]
	v_fmac_f64_e32 v[58:59], 0xbfe80000, v[38:39]
	;; [unrolled: 1-line block ×3, first 2 shown]
	s_waitcnt lgkmcnt(0)
	v_mov_b32_e32 v9, s17
	v_add_co_u32_e32 v8, vcc, s16, v24
	v_addc_co_u32_e32 v9, vcc, v9, v25, vcc
	global_load_dwordx2 v[8:9], v[8:9], off
	s_waitcnt vmcnt(0)
	buffer_store_dword v8, off, s[52:55], 0 offset:312 ; 4-byte Folded Spill
	s_nop 0
	buffer_store_dword v9, off, s[52:55], 0 offset:316 ; 4-byte Folded Spill
	v_add_f64 v[10:11], v[10:11], -v[20:21]
	v_add_u32_e32 v8, s44, v67
	s_mul_i32 s16, s2, s41
	v_fmac_f64_e32 v[40:41], v[58:59], v[10:11]
	v_mul_f64 v[10:11], v[36:37], s[6:7]
	v_subrev_u32_e32 v8, s16, v8
	v_fma_f64 v[92:93], v[56:57], v[10:11], 0
	v_mul_f64 v[10:11], v[42:43], s[6:7]
	v_subrev_u32_e32 v8, s45, v8
	v_fmac_f64_e32 v[92:93], v[14:15], v[10:11]
	v_mul_f64 v[10:11], v[82:83], s[6:7]
	v_add_u32_e32 v8, 2, v8
	s_add_i32 s44, s44, s40
	v_fma_f64 v[74:75], v[56:57], v[10:11], 0
	v_mul_f64 v[10:11], v[44:45], s[6:7]
	v_mul_lo_u32 v8, v8, s28
	s_add_i32 s47, s44, s46
	v_fmac_f64_e32 v[74:75], v[14:15], v[10:11]
	v_mul_f64 v[10:11], v[18:19], s[6:7]
	v_add3_u32 v18, v68, v8, s33
	v_add_u32_e32 v8, s47, v62
	s_mul_i32 s47, s3, 3
	s_sub_i32 s47, s47, s48
	v_subrev_u32_e32 v8, s45, v8
	s_add_i32 s47, s47, 3
	v_add_u32_e32 v8, 2, v8
	s_mul_i32 s47, s47, s41
	v_mul_lo_u32 v8, v8, s28
	s_add_i32 s48, s44, s47
	s_lshl_b32 s2, s2, 1
	v_add3_u32 v19, v68, v8, s33
	v_add_u32_e32 v8, s48, v62
	s_sub_i32 s2, s3, s2
	v_subrev_u32_e32 v8, s45, v8
	s_add_i32 s2, s2, 1
	v_add_u32_e32 v8, 2, v8
	s_mul_i32 s41, s41, s2
	v_mul_lo_u32 v8, v8, s28
	s_add_i32 s44, s44, s41
	v_add3_u32 v70, v68, v8, s33
	v_add_u32_e32 v8, s44, v62
	v_subrev_u32_e32 v8, s45, v8
	s_add_i32 s40, s40, s1
	v_add_u32_e32 v8, 2, v8
	v_add_u32_e32 v67, s40, v49
	v_mul_lo_u32 v8, v8, s28
	v_add_u32_e32 v66, s46, v67
	v_add3_u32 v65, v68, v8, s33
	v_subrev_u32_e32 v8, s0, v66
	v_mul_lo_u32 v8, s28, v8
	v_add3_u32 v111, v8, s28, v68
	v_add_u32_e32 v8, s47, v67
	v_subrev_u32_e32 v8, s0, v8
	v_mul_lo_u32 v8, s28, v8
	v_add_u32_e32 v69, s41, v67
	v_add3_u32 v9, v8, s28, v68
	v_subrev_u32_e32 v8, s0, v69
	v_fma_f64 v[104:105], v[56:57], v[10:11], 0
	v_mul_f64 v[10:11], v[40:41], s[6:7]
	v_mul_lo_u32 v8, s28, v8
	v_fmac_f64_e32 v[104:105], v[14:15], v[10:11]
	s_load_dwordx2 s[6:7], s[4:5], 0x80
	v_add3_u32 v10, v8, s28, v68
	v_subrev_u32_e32 v8, s16, v67
	v_subrev_u32_e32 v8, s0, v8
	v_mul_lo_u32 v8, s28, v8
	v_add3_u32 v8, v8, s28, v68
	s_mov_b32 s17, 1
	v_add_u32_e32 v64, s33, v111
	v_add_u32_e32 v71, s33, v9
	v_add_u32_e32 v72, s33, v10
	v_add_u32_e32 v73, s33, v8
	buffer_store_dword v9, off, s[52:55], 0 offset:728 ; 4-byte Folded Spill
	buffer_store_dword v10, off, s[52:55], 0 offset:732 ; 4-byte Folded Spill
	;; [unrolled: 1-line block ×3, first 2 shown]
.LBB0_2:                                ; =>This Loop Header: Depth=1
                                        ;     Child Loop BB0_3 Depth 2
	v_pk_mov_b32 v[16:17], 0, 0
	s_movk_i32 s1, 0xfe80
	v_mov_b32_e32 v77, v73
	v_mov_b32_e32 v78, v72
	v_mov_b32_e32 v79, v71
	v_mov_b32_e32 v80, v64
	v_mov_b32_e32 v81, v65
	v_mov_b32_e32 v82, v70
	v_mov_b32_e32 v83, v19
	v_mov_b32_e32 v84, v18
	v_pk_mov_b32 v[26:27], v[16:17], v[16:17] op_sel:[0,1]
	v_pk_mov_b32 v[24:25], v[16:17], v[16:17] op_sel:[0,1]
	;; [unrolled: 1-line block ×5, first 2 shown]
.LBB0_3:                                ;   Parent Loop BB0_2 Depth=1
                                        ; =>  This Inner Loop Header: Depth=2
	v_add_u32_e32 v85, s1, v76
	v_add_u32_e32 v8, 0x17f, v85
	v_ashrrev_i32_e32 v9, 31, v8
	v_lshlrev_b64 v[8:9], 3, v[8:9]
	v_add_u32_e32 v10, s42, v77
	v_add_co_u32_e32 v8, vcc, s20, v8
	v_mov_b32_e32 v94, s21
	v_ashrrev_i32_e32 v11, 31, v10
	v_addc_co_u32_e32 v9, vcc, v94, v9, vcc
	v_lshlrev_b64 v[20:21], 3, v[10:11]
	v_add_co_u32_e32 v22, vcc, s10, v20
	v_mov_b32_e32 v10, s11
	v_addc_co_u32_e32 v23, vcc, v10, v21, vcc
	v_add_co_u32_e32 v20, vcc, s12, v20
	v_mov_b32_e32 v11, s13
	v_addc_co_u32_e32 v21, vcc, v11, v21, vcc
	global_load_dwordx2 v[38:39], v[20:21], off
	v_add_u32_e32 v20, s42, v78
	v_ashrrev_i32_e32 v21, 31, v20
	v_lshlrev_b64 v[20:21], 3, v[20:21]
	v_add_u32_e32 v46, s42, v80
	v_add_co_u32_e32 v42, vcc, s14, v20
	v_mov_b32_e32 v20, s15
	v_ashrrev_i32_e32 v47, 31, v46
	v_addc_co_u32_e32 v43, vcc, v20, v21, vcc
	v_lshlrev_b64 v[46:47], 3, v[46:47]
	v_add_co_u32_e32 v46, vcc, s14, v46
	v_add_u32_e32 v86, s42, v79
	v_addc_co_u32_e32 v47, vcc, v20, v47, vcc
	v_ashrrev_i32_e32 v87, 31, v86
	global_load_dwordx2 v[42:43], v[42:43], off
	v_lshlrev_b64 v[86:87], 3, v[86:87]
	global_load_dwordx2 v[46:47], v[46:47], off
	v_add_co_u32_e32 v86, vcc, s14, v86
	global_load_dwordx2 v[22:23], v[22:23], off
	v_addc_co_u32_e32 v87, vcc, v20, v87, vcc
	global_load_dwordx2 v[86:87], v[86:87], off
	s_addk_i32 s1, 0x60
	global_load_dwordx2 v[8:9], v[8:9], off
	v_add_u32_e32 v80, s43, v80
	v_add_u32_e32 v79, s43, v79
	;; [unrolled: 1-line block ×4, first 2 shown]
	s_cmp_eq_u32 s1, 0
	s_waitcnt vmcnt(3)
	v_mul_f64 v[50:51], v[4:5], v[46:47]
	v_mul_f64 v[50:51], v[46:47], v[50:51]
	;; [unrolled: 1-line block ×3, first 2 shown]
	s_waitcnt vmcnt(2)
	v_fma_f64 v[40:41], 2.0, v[22:23], v[38:39]
	v_mul_f64 v[44:45], v[40:41], v[42:43]
	v_mul_f64 v[44:45], v[0:1], v[44:45]
	s_waitcnt vmcnt(1)
	v_fma_f64 v[90:91], v[86:87], v[86:87], v[50:51]
	v_mul_f64 v[44:45], v[42:43], v[44:45]
	v_mul_f64 v[90:91], v[22:23], v[90:91]
	v_fmac_f64_e32 v[90:91], v[0:1], v[44:45]
	s_waitcnt vmcnt(0)
	v_fmac_f64_e32 v[36:37], v[8:9], v[90:91]
	v_mul_f64 v[90:91], v[0:1], v[42:43]
	v_mul_f64 v[88:89], v[86:87], v[86:87]
	;; [unrolled: 1-line block ×5, first 2 shown]
	v_fmac_f64_e32 v[88:89], v[0:1], v[90:91]
	v_mul_f64 v[44:45], v[46:47], v[44:45]
	v_mul_f64 v[88:89], v[22:23], v[88:89]
	v_fmac_f64_e32 v[50:51], v[0:1], v[90:91]
	v_fmac_f64_e32 v[88:89], v[4:5], v[44:45]
	v_mul_f64 v[40:41], v[40:41], v[86:87]
	v_mul_f64 v[44:45], v[22:23], v[50:51]
	v_fmac_f64_e32 v[44:45], v[86:87], v[40:41]
	v_add_f64 v[22:23], v[22:23], v[38:39]
	v_fmac_f64_e32 v[26:27], v[8:9], v[88:89]
	v_fmac_f64_e32 v[16:17], v[8:9], v[44:45]
	v_mul_f64 v[8:9], v[8:9], v[22:23]
	v_mul_f64 v[22:23], v[42:43], v[8:9]
	;; [unrolled: 1-line block ×3, first 2 shown]
	v_fmac_f64_e32 v[24:25], v[8:9], v[86:87]
	v_add_u32_e32 v8, 0x1af, v85
	v_ashrrev_i32_e32 v9, 31, v8
	v_lshlrev_b64 v[8:9], 3, v[8:9]
	v_add_co_u32_e32 v8, vcc, s20, v8
	v_addc_co_u32_e32 v9, vcc, v94, v9, vcc
	global_load_dwordx2 v[38:39], v[8:9], off
	v_add_u32_e32 v8, s42, v84
	v_ashrrev_i32_e32 v9, 31, v8
	v_lshlrev_b64 v[8:9], 3, v[8:9]
	v_fmac_f64_e32 v[32:33], v[46:47], v[22:23]
	v_fmac_f64_e32 v[34:35], v[22:23], v[86:87]
	v_add_co_u32_e32 v22, vcc, s10, v8
	v_addc_co_u32_e32 v23, vcc, v10, v9, vcc
	v_add_co_u32_e32 v8, vcc, s12, v8
	v_addc_co_u32_e32 v9, vcc, v11, v9, vcc
	global_load_dwordx2 v[42:43], v[8:9], off
	v_add_u32_e32 v8, s42, v81
	v_ashrrev_i32_e32 v9, 31, v8
	global_load_dwordx2 v[40:41], v[22:23], off
	v_lshlrev_b64 v[8:9], 3, v[8:9]
	v_add_u32_e32 v22, s42, v83
	v_add_co_u32_e32 v8, vcc, s14, v8
	v_ashrrev_i32_e32 v23, 31, v22
	v_addc_co_u32_e32 v9, vcc, v20, v9, vcc
	v_lshlrev_b64 v[22:23], 3, v[22:23]
	v_add_co_u32_e32 v22, vcc, s14, v22
	v_addc_co_u32_e32 v23, vcc, v20, v23, vcc
	global_load_dwordx2 v[46:47], v[22:23], off
	v_add_u32_e32 v84, s43, v84
	global_load_dwordx2 v[8:9], v[8:9], off
	v_add_u32_e32 v83, s43, v83
	v_add_u32_e32 v81, s43, v81
	s_waitcnt vmcnt(2)
	v_fma_f64 v[44:45], 2.0, v[40:41], v[42:43]
	s_waitcnt vmcnt(1)
	v_mul_f64 v[22:23], v[4:5], v[46:47]
	v_mul_f64 v[22:23], v[46:47], v[22:23]
	;; [unrolled: 1-line block ×3, first 2 shown]
	v_add_u32_e32 v22, s42, v82
	v_ashrrev_i32_e32 v23, 31, v22
	v_lshlrev_b64 v[22:23], 3, v[22:23]
	v_add_co_u32_e32 v22, vcc, s14, v22
	v_addc_co_u32_e32 v23, vcc, v20, v23, vcc
	global_load_dwordx2 v[20:21], v[22:23], off
	s_waitcnt vmcnt(1)
	v_mul_f64 v[10:11], v[44:45], v[8:9]
	v_mul_f64 v[10:11], v[0:1], v[10:11]
	;; [unrolled: 1-line block ×3, first 2 shown]
	v_add_u32_e32 v82, s43, v82
	s_waitcnt vmcnt(0)
	v_fma_f64 v[86:87], v[20:21], v[20:21], v[50:51]
	v_mul_f64 v[86:87], v[40:41], v[86:87]
	v_fmac_f64_e32 v[86:87], v[0:1], v[10:11]
	v_fmac_f64_e32 v[36:37], v[38:39], v[86:87]
	v_mul_f64 v[86:87], v[0:1], v[8:9]
	v_mul_f64 v[22:23], v[20:21], v[20:21]
	;; [unrolled: 1-line block ×5, first 2 shown]
	v_fmac_f64_e32 v[22:23], v[0:1], v[86:87]
	v_mul_f64 v[10:11], v[46:47], v[10:11]
	v_mul_f64 v[22:23], v[40:41], v[22:23]
	v_fmac_f64_e32 v[22:23], v[4:5], v[10:11]
	v_fmac_f64_e32 v[50:51], v[0:1], v[86:87]
	;; [unrolled: 1-line block ×3, first 2 shown]
	v_mul_f64 v[10:11], v[44:45], v[20:21]
	v_mul_f64 v[22:23], v[40:41], v[50:51]
	v_fmac_f64_e32 v[22:23], v[20:21], v[10:11]
	v_add_f64 v[10:11], v[40:41], v[42:43]
	v_mul_f64 v[10:11], v[38:39], v[10:11]
	v_mul_f64 v[8:9], v[8:9], v[10:11]
	v_fmac_f64_e32 v[32:33], v[46:47], v[8:9]
	v_fmac_f64_e32 v[34:35], v[8:9], v[20:21]
	v_mul_f64 v[8:9], v[10:11], v[46:47]
	v_fmac_f64_e32 v[16:17], v[38:39], v[22:23]
	v_fmac_f64_e32 v[24:25], v[8:9], v[20:21]
	s_cbranch_scc0 .LBB0_3
; %bb.4:                                ;   in Loop: Header=BB0_2 Depth=1
	s_mul_i32 s1, s17, s25
	v_add_u32_e32 v10, s1, v54
	v_ashrrev_i32_e32 v11, 31, v10
	v_lshlrev_b64 v[20:21], 3, v[10:11]
	v_add_u32_e32 v10, s29, v10
	v_add_co_u32_e32 v20, vcc, s8, v20
	v_mov_b32_e32 v38, s9
	v_ashrrev_i32_e32 v11, 31, v10
	v_addc_co_u32_e32 v21, vcc, v38, v21, vcc
	v_lshlrev_b64 v[22:23], 3, v[10:11]
	v_add_u32_e32 v10, s29, v10
	v_add_co_u32_e32 v22, vcc, s8, v22
	v_ashrrev_i32_e32 v11, 31, v10
	v_addc_co_u32_e32 v23, vcc, v38, v23, vcc
	v_lshlrev_b64 v[10:11], 3, v[10:11]
	global_load_dwordx2 v[20:21], v[20:21], off
	v_add_co_u32_e32 v10, vcc, s8, v10
	global_load_dwordx2 v[22:23], v[22:23], off
	v_addc_co_u32_e32 v11, vcc, v38, v11, vcc
	global_load_dwordx2 v[10:11], v[10:11], off
	v_mul_f64 v[8:9], v[12:13], v[36:37]
	v_mul_f64 v[26:27], v[12:13], v[26:27]
	v_mul_f64 v[24:25], v[14:15], v[24:25]
	s_add_i32 s17, s17, 1
	v_add_u32_e32 v76, 6, v76
	s_cmp_eq_u32 s17, 9
	s_waitcnt vmcnt(1)
	v_mul_f64 v[36:37], v[32:33], v[22:23]
	v_fmac_f64_e32 v[36:37], v[8:9], v[20:21]
	v_mul_f64 v[8:9], v[56:57], v[34:35]
	v_mul_f64 v[26:27], v[26:27], v[22:23]
	;; [unrolled: 1-line block ×3, first 2 shown]
	s_waitcnt vmcnt(0)
	v_fmac_f64_e32 v[36:37], v[8:9], v[10:11]
	v_fmac_f64_e32 v[26:27], v[32:33], v[20:21]
	;; [unrolled: 1-line block ×3, first 2 shown]
	v_mul_f64 v[8:9], v[12:13], v[16:17]
	v_fmac_f64_e32 v[26:27], v[24:25], v[10:11]
	v_fmac_f64_e32 v[22:23], v[8:9], v[10:11]
	v_add_f64 v[92:93], v[92:93], v[36:37]
	v_add_f64 v[74:75], v[74:75], v[26:27]
	;; [unrolled: 1-line block ×3, first 2 shown]
	s_cbranch_scc0 .LBB0_2
; %bb.5:
	buffer_store_dword v56, off, s[52:55], 0 offset:328 ; 4-byte Folded Spill
	s_nop 0
	buffer_store_dword v57, off, s[52:55], 0 offset:332 ; 4-byte Folded Spill
	buffer_load_dword v8, off, s[52:55], 0 offset:72 ; 4-byte Folded Reload
	v_ashrrev_i32_e32 v49, 31, v48
	v_lshlrev_b64 v[16:17], 3, v[48:49]
	s_waitcnt lgkmcnt(0)
	v_add_co_u32_e32 v16, vcc, s6, v16
	s_add_i32 s1, s35, s25
	v_pk_mov_b32 v[84:85], 0, 0
	s_mov_b32 s2, s25
	v_pk_mov_b32 v[116:117], v[84:85], v[84:85] op_sel:[0,1]
	v_pk_mov_b32 v[64:65], v[84:85], v[84:85] op_sel:[0,1]
	;; [unrolled: 1-line block ×9, first 2 shown]
	s_waitcnt vmcnt(0)
	v_add_u32_e32 v11, s39, v8
	buffer_load_dword v8, off, s[52:55], 0 offset:80 ; 4-byte Folded Reload
	v_add_u32_e32 v34, v55, v11
	v_add_u32_e32 v38, v53, v11
	s_waitcnt vmcnt(0)
	v_add_u32_e32 v9, s39, v8
	buffer_load_dword v8, off, s[52:55], 0 offset:88 ; 4-byte Folded Reload
	v_add_u32_e32 v32, v63, v9
	v_add_u32_e32 v36, v55, v9
	;; [unrolled: 1-line block ×4, first 2 shown]
	s_waitcnt vmcnt(0)
	v_add_u32_e32 v10, s39, v8
	buffer_load_dword v8, off, s[52:55], 0 offset:96 ; 4-byte Folded Reload
	v_add_u32_e32 v27, v63, v10
	v_add_u32_e32 v35, v55, v10
	;; [unrolled: 1-line block ×3, first 2 shown]
	s_waitcnt vmcnt(0)
	v_add_u32_e32 v26, s39, v8
	v_mov_b32_e32 v8, s7
	v_addc_co_u32_e32 v17, vcc, v8, v17, vcc
	global_load_dwordx2 v[16:17], v[16:17], off offset:-8
	v_mov_b32_e32 v8, s11
	v_add_u32_e32 v33, v55, v26
	v_add_u32_e32 v37, v53, v26
	s_waitcnt vmcnt(0)
	buffer_store_dword v16, off, s[52:55], 0 offset:740 ; 4-byte Folded Spill
	s_nop 0
	buffer_store_dword v17, off, s[52:55], 0 offset:744 ; 4-byte Folded Spill
	v_add_u32_e32 v16, s25, v54
	v_ashrrev_i32_e32 v17, 31, v16
	v_lshlrev_b64 v[16:17], 3, v[16:17]
	v_add_co_u32_e32 v18, vcc, s10, v16
	v_addc_co_u32_e32 v19, vcc, v8, v17, vcc
	global_load_dwordx2 v[18:19], v[18:19], off
	v_mov_b32_e32 v8, s13
	v_add_co_u32_e32 v16, vcc, s12, v16
	v_addc_co_u32_e32 v17, vcc, v8, v17, vcc
	v_mov_b32_e32 v8, s15
	s_waitcnt vmcnt(0)
	buffer_store_dword v18, off, s[52:55], 0 offset:748 ; 4-byte Folded Spill
	s_nop 0
	buffer_store_dword v19, off, s[52:55], 0 offset:752 ; 4-byte Folded Spill
	global_load_dwordx2 v[16:17], v[16:17], off
	s_waitcnt vmcnt(0)
	buffer_store_dword v16, off, s[52:55], 0 offset:756 ; 4-byte Folded Spill
	s_nop 0
	buffer_store_dword v17, off, s[52:55], 0 offset:760 ; 4-byte Folded Spill
	v_add_u32_e32 v16, s1, v30
	v_ashrrev_i32_e32 v17, 31, v16
	v_lshlrev_b64 v[18:19], 3, v[16:17]
	v_add_co_u32_e32 v18, vcc, s14, v18
	v_addc_co_u32_e32 v19, vcc, v8, v19, vcc
	global_load_dwordx2 v[18:19], v[18:19], off
	v_add_u32_e32 v16, s29, v16
	v_ashrrev_i32_e32 v17, 31, v16
	v_lshlrev_b64 v[20:21], 3, v[16:17]
	v_add_co_u32_e32 v20, vcc, s14, v20
	v_addc_co_u32_e32 v21, vcc, v8, v21, vcc
	v_add_u32_e32 v16, s29, v16
	v_ashrrev_i32_e32 v17, 31, v16
	v_lshlrev_b64 v[16:17], 3, v[16:17]
	v_add_co_u32_e32 v16, vcc, s14, v16
	v_addc_co_u32_e32 v17, vcc, v8, v17, vcc
	v_mov_b32_e32 v8, s9
	s_mov_b32 s1, -1
	s_waitcnt vmcnt(0)
	buffer_store_dword v18, off, s[52:55], 0 offset:772 ; 4-byte Folded Spill
	s_nop 0
	buffer_store_dword v19, off, s[52:55], 0 offset:776 ; 4-byte Folded Spill
	global_load_dwordx2 v[18:19], v[20:21], off
	s_waitcnt vmcnt(0)
	buffer_store_dword v18, off, s[52:55], 0 offset:764 ; 4-byte Folded Spill
	s_nop 0
	buffer_store_dword v19, off, s[52:55], 0 offset:768 ; 4-byte Folded Spill
	global_load_dwordx2 v[16:17], v[16:17], off
	v_add_u32_e32 v18, v63, v26
	v_add_u32_e32 v24, s35, v18
	v_ashrrev_i32_e32 v25, 31, v24
	v_add_u32_e32 v19, v63, v11
	v_lshlrev_b64 v[24:25], 3, v[24:25]
	v_add_u32_e32 v26, v31, v26
	v_pk_mov_b32 v[62:63], v[84:85], v[84:85] op_sel:[0,1]
	s_waitcnt vmcnt(0)
	buffer_store_dword v16, off, s[52:55], 0 offset:780 ; 4-byte Folded Spill
	s_nop 0
	buffer_store_dword v17, off, s[52:55], 0 offset:784 ; 4-byte Folded Spill
	v_add_u32_e32 v16, s29, v30
	v_ashrrev_i32_e32 v17, 31, v16
	v_lshlrev_b64 v[20:21], 3, v[16:17]
	v_add_co_u32_e32 v20, vcc, s8, v20
	v_addc_co_u32_e32 v21, vcc, v8, v21, vcc
	global_load_dwordx2 v[20:21], v[20:21], off
	v_add_u32_e32 v16, s29, v16
	v_ashrrev_i32_e32 v17, 31, v16
	v_lshlrev_b64 v[22:23], 3, v[16:17]
	v_add_co_u32_e32 v22, vcc, s8, v22
	v_addc_co_u32_e32 v23, vcc, v8, v23, vcc
	v_add_u32_e32 v16, s29, v16
	v_ashrrev_i32_e32 v17, 31, v16
	v_lshlrev_b64 v[16:17], 3, v[16:17]
	v_add_co_u32_e32 v16, vcc, s8, v16
	v_addc_co_u32_e32 v17, vcc, v8, v17, vcc
	v_add_co_u32_e32 v24, vcc, s8, v24
	v_addc_co_u32_e32 v25, vcc, v8, v25, vcc
	s_waitcnt vmcnt(0)
	buffer_store_dword v20, off, s[52:55], 0 offset:796 ; 4-byte Folded Spill
	s_nop 0
	buffer_store_dword v21, off, s[52:55], 0 offset:800 ; 4-byte Folded Spill
	global_load_dwordx2 v[20:21], v[22:23], off
	v_add_u32_e32 v22, s35, v32
	v_ashrrev_i32_e32 v23, 31, v22
	v_lshlrev_b64 v[22:23], 3, v[22:23]
	s_waitcnt vmcnt(0)
	buffer_store_dword v20, off, s[52:55], 0 offset:804 ; 4-byte Folded Spill
	s_nop 0
	buffer_store_dword v21, off, s[52:55], 0 offset:808 ; 4-byte Folded Spill
	global_load_dwordx2 v[16:17], v[16:17], off
	v_add_u32_e32 v20, s35, v27
	v_ashrrev_i32_e32 v21, 31, v20
	v_lshlrev_b64 v[20:21], 3, v[20:21]
	s_waitcnt vmcnt(0)
	buffer_store_dword v16, off, s[52:55], 0 offset:788 ; 4-byte Folded Spill
	s_nop 0
	buffer_store_dword v17, off, s[52:55], 0 offset:792 ; 4-byte Folded Spill
	v_add_u32_e32 v16, s35, v19
	v_ashrrev_i32_e32 v17, 31, v16
	v_lshlrev_b64 v[16:17], 3, v[16:17]
	v_add_co_u32_e32 v16, vcc, s8, v16
	v_addc_co_u32_e32 v17, vcc, v8, v17, vcc
	global_load_dwordx2 v[56:57], v[24:25], off
	v_add_co_u32_e32 v20, vcc, s8, v20
	global_load_dwordx2 v[16:17], v[16:17], off
	v_addc_co_u32_e32 v21, vcc, v8, v21, vcc
	v_add_u32_e32 v24, s35, v33
	v_add_co_u32_e32 v22, vcc, s8, v22
	v_ashrrev_i32_e32 v25, 31, v24
	v_addc_co_u32_e32 v23, vcc, v8, v23, vcc
	v_lshlrev_b64 v[24:25], 3, v[24:25]
	v_add_co_u32_e32 v24, vcc, s8, v24
	v_addc_co_u32_e32 v25, vcc, v8, v25, vcc
	s_waitcnt vmcnt(0)
	buffer_store_dword v16, off, s[52:55], 0 offset:88 ; 4-byte Folded Spill
	s_nop 0
	buffer_store_dword v17, off, s[52:55], 0 offset:92 ; 4-byte Folded Spill
	global_load_dwordx2 v[16:17], v[20:21], off
	v_add_u32_e32 v20, s35, v35
	v_ashrrev_i32_e32 v21, 31, v20
	v_lshlrev_b64 v[20:21], 3, v[20:21]
	s_waitcnt vmcnt(0)
	buffer_store_dword v16, off, s[52:55], 0 offset:72 ; 4-byte Folded Spill
	s_nop 0
	buffer_store_dword v17, off, s[52:55], 0 offset:76 ; 4-byte Folded Spill
	global_load_dwordx2 v[58:59], v[22:23], off
	s_nop 0
	global_load_dwordx2 v[16:17], v[24:25], off
	v_add_u32_e32 v22, s35, v36
	v_ashrrev_i32_e32 v23, 31, v22
	v_lshlrev_b64 v[22:23], 3, v[22:23]
	v_add_u32_e32 v24, s35, v37
	v_ashrrev_i32_e32 v25, 31, v24
	v_lshlrev_b64 v[24:25], 3, v[24:25]
	s_waitcnt vmcnt(0)
	buffer_store_dword v16, off, s[52:55], 0 offset:80 ; 4-byte Folded Spill
	s_nop 0
	buffer_store_dword v17, off, s[52:55], 0 offset:84 ; 4-byte Folded Spill
	v_add_u32_e32 v16, s35, v34
	v_ashrrev_i32_e32 v17, 31, v16
	v_lshlrev_b64 v[16:17], 3, v[16:17]
	v_add_co_u32_e32 v16, vcc, s8, v16
	v_addc_co_u32_e32 v17, vcc, v8, v17, vcc
	global_load_dwordx2 v[16:17], v[16:17], off
	v_add_co_u32_e32 v20, vcc, s8, v20
	v_addc_co_u32_e32 v21, vcc, v8, v21, vcc
	v_add_co_u32_e32 v22, vcc, s8, v22
	v_addc_co_u32_e32 v23, vcc, v8, v23, vcc
	;; [unrolled: 2-line block ×3, first 2 shown]
	s_waitcnt vmcnt(0)
	buffer_store_dword v16, off, s[52:55], 0 offset:104 ; 4-byte Folded Spill
	s_nop 0
	buffer_store_dword v17, off, s[52:55], 0 offset:108 ; 4-byte Folded Spill
	global_load_dwordx2 v[16:17], v[20:21], off
	v_add_u32_e32 v20, s35, v39
	v_ashrrev_i32_e32 v21, 31, v20
	v_lshlrev_b64 v[20:21], 3, v[20:21]
	s_waitcnt vmcnt(0)
	buffer_store_dword v16, off, s[52:55], 0 offset:96 ; 4-byte Folded Spill
	s_nop 0
	buffer_store_dword v17, off, s[52:55], 0 offset:100 ; 4-byte Folded Spill
	global_load_dwordx2 v[16:17], v[22:23], off
	v_add_u32_e32 v22, s35, v40
	v_ashrrev_i32_e32 v23, 31, v22
	v_lshlrev_b64 v[22:23], 3, v[22:23]
	;; [unrolled: 8-line block ×3, first 2 shown]
	s_waitcnt vmcnt(0)
	buffer_store_dword v16, off, s[52:55], 0 offset:112 ; 4-byte Folded Spill
	s_nop 0
	buffer_store_dword v17, off, s[52:55], 0 offset:116 ; 4-byte Folded Spill
	v_add_u32_e32 v16, s35, v38
	v_ashrrev_i32_e32 v17, 31, v16
	v_lshlrev_b64 v[16:17], 3, v[16:17]
	v_add_co_u32_e32 v16, vcc, s8, v16
	v_addc_co_u32_e32 v17, vcc, v8, v17, vcc
	global_load_dwordx2 v[16:17], v[16:17], off
	v_add_co_u32_e32 v20, vcc, s8, v20
	v_addc_co_u32_e32 v21, vcc, v8, v21, vcc
	v_add_co_u32_e32 v22, vcc, s8, v22
	v_addc_co_u32_e32 v23, vcc, v8, v23, vcc
	;; [unrolled: 2-line block ×3, first 2 shown]
	s_waitcnt vmcnt(0)
	buffer_store_dword v16, off, s[52:55], 0 offset:152 ; 4-byte Folded Spill
	s_nop 0
	buffer_store_dword v17, off, s[52:55], 0 offset:156 ; 4-byte Folded Spill
	global_load_dwordx2 v[16:17], v[20:21], off
	v_add_u32_e32 v20, s35, v9
	v_ashrrev_i32_e32 v21, 31, v20
	v_lshlrev_b64 v[20:21], 3, v[20:21]
	s_waitcnt vmcnt(0)
	buffer_store_dword v16, off, s[52:55], 0 offset:144 ; 4-byte Folded Spill
	s_nop 0
	buffer_store_dword v17, off, s[52:55], 0 offset:148 ; 4-byte Folded Spill
	global_load_dwordx2 v[16:17], v[22:23], off
	v_add_u32_e32 v22, s29, v18
	v_ashrrev_i32_e32 v23, 31, v22
	v_lshlrev_b64 v[22:23], 3, v[22:23]
	s_waitcnt vmcnt(0)
	buffer_store_dword v16, off, s[52:55], 0 offset:128 ; 4-byte Folded Spill
	s_nop 0
	buffer_store_dword v17, off, s[52:55], 0 offset:132 ; 4-byte Folded Spill
	global_load_dwordx2 v[16:17], v[24:25], off
	v_add_u32_e32 v24, v31, v11
	v_add_u32_e32 v25, v31, v10
	;; [unrolled: 1-line block ×3, first 2 shown]
	v_ashrrev_i32_e32 v11, 31, v10
	v_lshlrev_b64 v[10:11], 3, v[10:11]
	v_ashrrev_i32_e32 v31, 31, v30
	s_waitcnt vmcnt(0)
	buffer_store_dword v16, off, s[52:55], 0 offset:812 ; 4-byte Folded Spill
	s_nop 0
	buffer_store_dword v17, off, s[52:55], 0 offset:816 ; 4-byte Folded Spill
	v_add_u32_e32 v16, s35, v24
	v_ashrrev_i32_e32 v17, 31, v16
	v_lshlrev_b64 v[16:17], 3, v[16:17]
	v_add_co_u32_e32 v16, vcc, s8, v16
	v_addc_co_u32_e32 v17, vcc, v8, v17, vcc
	global_load_dwordx2 v[16:17], v[16:17], off
	v_add_co_u32_e32 v10, vcc, s8, v10
	v_addc_co_u32_e32 v11, vcc, v8, v11, vcc
	v_add_co_u32_e32 v20, vcc, s8, v20
	v_addc_co_u32_e32 v21, vcc, v8, v21, vcc
	v_add_co_u32_e32 v22, vcc, s8, v22
	v_addc_co_u32_e32 v23, vcc, v8, v23, vcc
	s_waitcnt vmcnt(0)
	buffer_store_dword v16, off, s[52:55], 0 offset:208 ; 4-byte Folded Spill
	s_nop 0
	buffer_store_dword v17, off, s[52:55], 0 offset:212 ; 4-byte Folded Spill
	global_load_dwordx2 v[10:11], v[10:11], off
	v_add_u32_e32 v16, s29, v27
	v_ashrrev_i32_e32 v17, 31, v16
	v_lshlrev_b64 v[16:17], 3, v[16:17]
	s_waitcnt vmcnt(0)
	buffer_store_dword v10, off, s[52:55], 0 offset:192 ; 4-byte Folded Spill
	s_nop 0
	buffer_store_dword v11, off, s[52:55], 0 offset:196 ; 4-byte Folded Spill
	global_load_dwordx2 v[10:11], v[20:21], off
	v_add_u32_e32 v20, s29, v32
	v_ashrrev_i32_e32 v21, 31, v20
	v_lshlrev_b64 v[20:21], 3, v[20:21]
	s_waitcnt vmcnt(0)
	buffer_store_dword v10, off, s[52:55], 0 offset:184 ; 4-byte Folded Spill
	s_nop 0
	buffer_store_dword v11, off, s[52:55], 0 offset:188 ; 4-byte Folded Spill
	global_load_dwordx2 v[10:11], v[22:23], off
	v_add_u32_e32 v22, s29, v33
	v_ashrrev_i32_e32 v23, 31, v22
	v_lshlrev_b64 v[22:23], 3, v[22:23]
	s_waitcnt vmcnt(0)
	buffer_store_dword v10, off, s[52:55], 0 offset:168 ; 4-byte Folded Spill
	s_nop 0
	buffer_store_dword v11, off, s[52:55], 0 offset:172 ; 4-byte Folded Spill
	v_add_u32_e32 v10, s29, v19
	v_ashrrev_i32_e32 v11, 31, v10
	v_lshlrev_b64 v[10:11], 3, v[10:11]
	v_add_co_u32_e32 v10, vcc, s8, v10
	v_addc_co_u32_e32 v11, vcc, v8, v11, vcc
	global_load_dwordx2 v[10:11], v[10:11], off
	v_add_co_u32_e32 v16, vcc, s8, v16
	v_addc_co_u32_e32 v17, vcc, v8, v17, vcc
	v_add_co_u32_e32 v20, vcc, s8, v20
	v_addc_co_u32_e32 v21, vcc, v8, v21, vcc
	v_add_co_u32_e32 v22, vcc, s8, v22
	v_addc_co_u32_e32 v23, vcc, v8, v23, vcc
	s_waitcnt vmcnt(0)
	buffer_store_dword v10, off, s[52:55], 0 offset:200 ; 4-byte Folded Spill
	s_nop 0
	buffer_store_dword v11, off, s[52:55], 0 offset:204 ; 4-byte Folded Spill
	global_load_dwordx2 v[10:11], v[16:17], off
	v_add_u32_e32 v16, s29, v35
	v_ashrrev_i32_e32 v17, 31, v16
	v_lshlrev_b64 v[16:17], 3, v[16:17]
	s_waitcnt vmcnt(0)
	buffer_store_dword v10, off, s[52:55], 0 offset:136 ; 4-byte Folded Spill
	s_nop 0
	buffer_store_dword v11, off, s[52:55], 0 offset:140 ; 4-byte Folded Spill
	global_load_dwordx2 v[10:11], v[20:21], off
	v_add_u32_e32 v20, s29, v36
	v_ashrrev_i32_e32 v21, 31, v20
	v_lshlrev_b64 v[20:21], 3, v[20:21]
	s_waitcnt vmcnt(0)
	buffer_store_dword v10, off, s[52:55], 0 offset:160 ; 4-byte Folded Spill
	s_nop 0
	buffer_store_dword v11, off, s[52:55], 0 offset:164 ; 4-byte Folded Spill
	global_load_dwordx2 v[10:11], v[22:23], off
	v_add_u32_e32 v22, s29, v37
	v_ashrrev_i32_e32 v23, 31, v22
	v_lshlrev_b64 v[22:23], 3, v[22:23]
	;; [unrolled: 40-line block ×3, first 2 shown]
	s_waitcnt vmcnt(0)
	buffer_store_dword v10, off, s[52:55], 0 offset:264 ; 4-byte Folded Spill
	s_nop 0
	buffer_store_dword v11, off, s[52:55], 0 offset:268 ; 4-byte Folded Spill
	v_add_u32_e32 v10, s29, v38
	v_ashrrev_i32_e32 v11, 31, v10
	v_lshlrev_b64 v[10:11], 3, v[10:11]
	v_add_co_u32_e32 v10, vcc, s8, v10
	v_addc_co_u32_e32 v11, vcc, v8, v11, vcc
	global_load_dwordx2 v[10:11], v[10:11], off
	v_add_co_u32_e32 v16, vcc, s8, v16
	v_addc_co_u32_e32 v17, vcc, v8, v17, vcc
	v_add_co_u32_e32 v20, vcc, s8, v20
	v_addc_co_u32_e32 v21, vcc, v8, v21, vcc
	;; [unrolled: 2-line block ×3, first 2 shown]
	s_waitcnt vmcnt(0)
	buffer_store_dword v10, off, s[52:55], 0 offset:272 ; 4-byte Folded Spill
	s_nop 0
	buffer_store_dword v11, off, s[52:55], 0 offset:276 ; 4-byte Folded Spill
	global_load_dwordx2 v[10:11], v[16:17], off
	v_add_u32_e32 v16, s29, v25
	v_ashrrev_i32_e32 v17, 31, v16
	v_lshlrev_b64 v[16:17], 3, v[16:17]
	s_waitcnt vmcnt(0)
	buffer_store_dword v10, off, s[52:55], 0 offset:224 ; 4-byte Folded Spill
	s_nop 0
	buffer_store_dword v11, off, s[52:55], 0 offset:228 ; 4-byte Folded Spill
	global_load_dwordx2 v[10:11], v[20:21], off
	v_add_u32_e32 v20, s29, v9
	v_ashrrev_i32_e32 v21, 31, v20
	v_lshlrev_b64 v[20:21], 3, v[20:21]
	s_waitcnt vmcnt(0)
	buffer_store_dword v10, off, s[52:55], 0 offset:240 ; 4-byte Folded Spill
	s_nop 0
	buffer_store_dword v11, off, s[52:55], 0 offset:244 ; 4-byte Folded Spill
	global_load_dwordx2 v[10:11], v[22:23], off
	s_waitcnt vmcnt(0)
	buffer_store_dword v10, off, s[52:55], 0 offset:280 ; 4-byte Folded Spill
	s_nop 0
	buffer_store_dword v11, off, s[52:55], 0 offset:284 ; 4-byte Folded Spill
	v_add_u32_e32 v10, s29, v24
	v_ashrrev_i32_e32 v11, 31, v10
	v_lshlrev_b64 v[10:11], 3, v[10:11]
	v_add_co_u32_e32 v10, vcc, s8, v10
	v_addc_co_u32_e32 v11, vcc, v8, v11, vcc
	v_add_co_u32_e32 v16, vcc, s8, v16
	v_addc_co_u32_e32 v17, vcc, v8, v17, vcc
	;; [unrolled: 2-line block ×3, first 2 shown]
	global_load_dwordx2 v[8:9], v[10:11], off
	s_waitcnt vmcnt(0)
	buffer_store_dword v8, off, s[52:55], 0 offset:288 ; 4-byte Folded Spill
	s_nop 0
	buffer_store_dword v9, off, s[52:55], 0 offset:292 ; 4-byte Folded Spill
	global_load_dwordx2 v[8:9], v[16:17], off
	v_pk_mov_b32 v[16:17], v[84:85], v[84:85] op_sel:[0,1]
	s_waitcnt vmcnt(0)
	buffer_store_dword v8, off, s[52:55], 0 offset:248 ; 4-byte Folded Spill
	s_nop 0
	buffer_store_dword v9, off, s[52:55], 0 offset:252 ; 4-byte Folded Spill
	global_load_dwordx2 v[28:29], v[20:21], off
.LBB0_6:                                ; =>This Inner Loop Header: Depth=1
	v_add_u32_e32 v8, s1, v48
	v_ashrrev_i32_e32 v9, 31, v8
	v_lshlrev_b64 v[8:9], 3, v[8:9]
	v_add_co_u32_e32 v8, vcc, s22, v8
	v_mov_b32_e32 v10, s23
	v_addc_co_u32_e32 v9, vcc, v10, v9, vcc
	s_ashr_i32 s3, s2, 31
	v_add_co_u32_e32 v18, vcc, s2, v30
	v_mov_b32_e32 v10, s3
	v_addc_co_u32_e32 v19, vcc, v10, v31, vcc
	v_add_co_u32_e32 v10, vcc, s29, v18
	v_mov_b32_e32 v11, s34
	v_addc_co_u32_e32 v11, vcc, v19, v11, vcc
	v_lshlrev_b64 v[10:11], 3, v[10:11]
	v_add_co_u32_e32 v10, vcc, s8, v10
	v_mov_b32_e32 v32, s9
	v_addc_co_u32_e32 v11, vcc, v32, v11, vcc
	global_load_dwordx2 v[8:9], v[8:9], off
	v_add_co_u32_e32 v20, vcc, s35, v18
	global_load_dwordx4 v[24:27], v[10:11], off offset:-16
	v_mov_b32_e32 v21, s36
	v_addc_co_u32_e32 v21, vcc, v19, v21, vcc
	v_lshlrev_b64 v[20:21], 3, v[20:21]
	s_add_i32 s1, s1, 6
	s_add_i32 s2, s2, s25
	s_cmp_eq_u32 s1, 47
	s_waitcnt vmcnt(0)
	v_fmac_f64_e32 v[16:17], v[8:9], v[24:25]
	v_add_co_u32_e32 v24, vcc, s8, v20
	v_addc_co_u32_e32 v25, vcc, v32, v21, vcc
	global_load_dwordx4 v[20:23], v[24:25], off offset:-16
	v_fmac_f64_e32 v[100:101], v[8:9], v[26:27]
	s_waitcnt vmcnt(0)
	v_fmac_f64_e32 v[62:63], v[8:9], v[20:21]
	v_add_co_u32_e32 v20, vcc, s37, v18
	v_mov_b32_e32 v18, s38
	v_addc_co_u32_e32 v21, vcc, v19, v18, vcc
	v_lshlrev_b64 v[20:21], 3, v[20:21]
	v_add_co_u32_e32 v36, vcc, s8, v20
	v_addc_co_u32_e32 v37, vcc, v32, v21, vcc
	global_load_dwordx4 v[32:35], v[36:37], off offset:-16
	v_fmac_f64_e32 v[98:99], v[8:9], v[22:23]
	global_load_dwordx4 v[20:23], v[10:11], off offset:8
	s_waitcnt vmcnt(1)
	v_fmac_f64_e32 v[50:51], v[8:9], v[32:33]
	v_fmac_f64_e32 v[64:65], v[8:9], v[34:35]
	s_waitcnt vmcnt(0)
	v_fmac_f64_e32 v[94:95], v[8:9], v[22:23]
	global_load_dwordx4 v[22:25], v[24:25], off offset:8
	v_fmac_f64_e32 v[90:91], v[8:9], v[20:21]
	s_waitcnt vmcnt(0)
	v_fmac_f64_e32 v[96:97], v[8:9], v[24:25]
	global_load_dwordx4 v[24:27], v[36:37], off offset:8
	v_fmac_f64_e32 v[126:127], v[8:9], v[22:23]
	s_waitcnt vmcnt(0)
	v_fmac_f64_e32 v[84:85], v[8:9], v[26:27]
	v_fmac_f64_e32 v[116:117], v[8:9], v[24:25]
	s_cbranch_scc0 .LBB0_6
; %bb.7:
	buffer_store_dword v14, off, s[52:55], 0 offset:464 ; 4-byte Folded Spill
	s_nop 0
	buffer_store_dword v15, off, s[52:55], 0 offset:468 ; 4-byte Folded Spill
	buffer_load_dword v8, off, s[52:55], 0  ; 4-byte Folded Reload
	buffer_load_dword v9, off, s[52:55], 0 offset:4 ; 4-byte Folded Reload
	v_mov_b32_e32 v18, s15
	s_lshl_b32 s1, s29, 2
	s_ashr_i32 s2, s1, 31
	v_mov_b32_e32 v19, s2
	s_not_b32 s2, s0
	s_mul_i32 s3, s31, 3
	s_lshl_b32 s6, s30, 2
	v_mov_b32_e32 v110, v48
	s_waitcnt vmcnt(1)
	v_add_co_u32_e32 v8, vcc, s14, v8
	s_waitcnt vmcnt(0)
	v_addc_co_u32_e32 v9, vcc, v18, v9, vcc
	v_add_co_u32_e32 v10, vcc, s14, v106
	buffer_store_dword v106, off, s[52:55], 0 offset:304 ; 4-byte Folded Spill
	s_nop 0
	buffer_store_dword v107, off, s[52:55], 0 offset:308 ; 4-byte Folded Spill
	v_addc_co_u32_e32 v11, vcc, v18, v107, vcc
	v_add_co_u32_e32 v20, vcc, s1, v112
	v_addc_co_u32_e32 v21, vcc, v113, v19, vcc
	v_lshlrev_b64 v[20:21], 3, v[20:21]
	v_add_co_u32_e32 v36, vcc, s14, v20
	v_addc_co_u32_e32 v37, vcc, v18, v21, vcc
	global_load_dwordx4 v[18:21], v[8:9], off offset:8
	v_pk_mov_b32 v[106:107], 0, 0
	v_pk_mov_b32 v[86:87], v[106:107], v[106:107] op_sel:[0,1]
	v_pk_mov_b32 v[120:121], v[106:107], v[106:107] op_sel:[0,1]
	;; [unrolled: 1-line block ×9, first 2 shown]
	s_waitcnt vmcnt(0)
	buffer_store_dword v18, off, s[52:55], 0 offset:820 ; 4-byte Folded Spill
	s_nop 0
	buffer_store_dword v19, off, s[52:55], 0 offset:824 ; 4-byte Folded Spill
	buffer_store_dword v20, off, s[52:55], 0 offset:828 ; 4-byte Folded Spill
	;; [unrolled: 1-line block ×3, first 2 shown]
	global_load_dwordx4 v[20:23], v[8:9], off offset:-16
	s_nop 0
	global_load_dwordx4 v[24:27], v[10:11], off offset:8
	s_waitcnt vmcnt(0)
	buffer_store_dword v24, off, s[52:55], 0 offset:852 ; 4-byte Folded Spill
	s_nop 0
	buffer_store_dword v25, off, s[52:55], 0 offset:856 ; 4-byte Folded Spill
	buffer_store_dword v26, off, s[52:55], 0 offset:860 ; 4-byte Folded Spill
	;; [unrolled: 1-line block ×3, first 2 shown]
	global_load_dwordx4 v[44:47], v[10:11], off offset:-16
	s_nop 0
	global_load_dwordx4 v[8:11], v[36:37], off offset:8
	s_waitcnt vmcnt(0)
	buffer_store_dword v8, off, s[52:55], 0 offset:836 ; 4-byte Folded Spill
	s_nop 0
	buffer_store_dword v9, off, s[52:55], 0 offset:840 ; 4-byte Folded Spill
	buffer_store_dword v10, off, s[52:55], 0 offset:844 ; 4-byte Folded Spill
	;; [unrolled: 1-line block ×3, first 2 shown]
	global_load_dwordx4 v[36:39], v[36:37], off offset:-16
	v_add_u32_e32 v8, s2, v69
	v_mul_lo_u32 v8, v8, s28
	v_add_u32_e32 v9, v68, v8
	v_add_u32_e32 v10, s3, v9
	v_subrev_u32_e32 v10, s6, v10
	v_add_u32_e32 v42, 3, v10
	v_add_u32_e32 v10, s2, v66
	v_mul_lo_u32 v10, v10, s28
	v_add_u32_e32 v11, v68, v10
	v_add_u32_e32 v18, s3, v11
	v_subrev_u32_e32 v18, s6, v18
	v_add_u32_e32 v66, 3, v18
	v_xad_u32 v18, s16, -1, v67
	v_subrev_u32_e32 v18, s0, v18
	v_mul_lo_u32 v18, v18, s28
	v_add_u32_e32 v19, v68, v18
	v_add_u32_e32 v40, s3, v19
	v_subrev_u32_e32 v40, s6, v40
	s_lshl_b32 s0, s31, 2
	v_add_u32_e32 v80, 3, v40
	v_add_u32_e32 v40, s0, v9
	s_mul_i32 s3, s30, 5
	v_subrev_u32_e32 v40, s3, v40
	v_add_u32_e32 v114, 4, v40
	v_add_u32_e32 v40, s0, v11
	v_subrev_u32_e32 v40, s3, v40
	v_add_u32_e32 v82, 4, v40
	v_add_u32_e32 v40, s0, v19
	s_add_i32 s0, s27, s24
	v_subrev_u32_e32 v40, s3, v40
	s_add_i32 s0, s0, s31
	v_add_u32_e32 v70, 4, v40
	v_add_u32_e32 v40, s0, v52
	;; [unrolled: 1-line block ×3, first 2 shown]
	s_lshl_b32 s0, s30, 1
	v_subrev_u32_e32 v8, s0, v8
	v_add_u32_e32 v71, 1, v8
	v_add_u32_e32 v8, v40, v10
	v_subrev_u32_e32 v8, s0, v8
	v_add_u32_e32 v88, 1, v8
	v_add_u32_e32 v8, v40, v18
	v_subrev_u32_e32 v8, s0, v8
	v_add_u32_e32 v89, 1, v8
	v_subrev_u32_e32 v118, s30, v9
	v_subrev_u32_e32 v119, s30, v11
	;; [unrolled: 1-line block ×3, first 2 shown]
	s_mov_b32 s2, -1
	v_mov_b32_e32 v8, v112
	v_mov_b32_e32 v9, v119
	v_mov_b32_e32 v10, v118
	v_mov_b32_e32 v11, v89
	v_mov_b32_e32 v108, v88
	v_mov_b32_e32 v109, v71
	v_mov_b32_e32 v113, v70
	v_mov_b32_e32 v115, v82
	v_mov_b32_e32 v83, v114
	v_mov_b32_e32 v67, v80
	v_mov_b32_e32 v81, v66
	v_mov_b32_e32 v49, v42
	v_pk_mov_b32 v[68:69], v[106:107], v[106:107] op_sel:[0,1]
	v_pk_mov_b32 v[52:53], v[106:107], v[106:107] op_sel:[0,1]
.LBB0_8:                                ; =>This Inner Loop Header: Depth=1
	v_add_u32_e32 v40, s2, v110
	v_ashrrev_i32_e32 v41, 31, v40
	v_lshlrev_b64 v[40:41], 3, v[40:41]
	v_add_co_u32_e32 v40, vcc, s22, v40
	v_mov_b32_e32 v18, s23
	v_addc_co_u32_e32 v41, vcc, v18, v41, vcc
	global_load_dwordx2 v[72:73], v[40:41], off
	v_add_u32_e32 v40, s33, v8
	v_ashrrev_i32_e32 v41, 31, v40
	v_lshlrev_b64 v[40:41], 3, v[40:41]
	v_add_co_u32_e32 v18, vcc, s8, v40
	v_mov_b32_e32 v40, s9
	v_addc_co_u32_e32 v19, vcc, v40, v41, vcc
	global_load_dwordx2 v[18:19], v[18:19], off
	s_add_i32 s2, s2, 6
	v_add_u32_e32 v8, s25, v8
	s_cmp_eq_u32 s2, 47
	s_waitcnt vmcnt(0)
	v_fmac_f64_e32 v[76:77], v[72:73], v[18:19]
	v_add_u32_e32 v18, s33, v10
	v_ashrrev_i32_e32 v19, 31, v18
	v_lshlrev_b64 v[18:19], 3, v[18:19]
	v_add_co_u32_e32 v18, vcc, s8, v18
	v_addc_co_u32_e32 v19, vcc, v40, v19, vcc
	global_load_dwordx2 v[18:19], v[18:19], off
	v_add_u32_e32 v10, s25, v10
	s_waitcnt vmcnt(0)
	v_fmac_f64_e32 v[124:125], v[72:73], v[18:19]
	v_add_u32_e32 v18, s33, v9
	v_ashrrev_i32_e32 v19, 31, v18
	v_lshlrev_b64 v[18:19], 3, v[18:19]
	v_add_co_u32_e32 v18, vcc, s8, v18
	v_addc_co_u32_e32 v19, vcc, v40, v19, vcc
	global_load_dwordx2 v[18:19], v[18:19], off
	v_add_u32_e32 v9, s25, v9
	;; [unrolled: 9-line block ×11, first 2 shown]
	s_waitcnt vmcnt(0)
	v_fmac_f64_e32 v[86:87], v[72:73], v[18:19]
	s_cbranch_scc0 .LBB0_8
; %bb.9:
	buffer_load_dword v8, off, s[52:55], 0 offset:88 ; 4-byte Folded Reload
	buffer_load_dword v9, off, s[52:55], 0 offset:92 ; 4-byte Folded Reload
	;; [unrolled: 1-line block ×4, first 2 shown]
	s_mov_b32 s2, 0x55555555
	s_mov_b32 s3, 0x3fb55555
	;; [unrolled: 1-line block ×4, first 2 shown]
	v_mov_b32_e32 v43, s15
	s_mov_b32 s16, -1
	s_waitcnt vmcnt(2)
	v_add_f64 v[8:9], v[56:57], -v[8:9]
	v_mul_f64 v[8:9], v[8:9], s[2:3]
	s_waitcnt vmcnt(0)
	v_add_f64 v[10:11], v[10:11], -v[58:59]
	v_fma_f64 v[8:9], v[10:11], s[6:7], -v[8:9]
	buffer_load_dword v10, off, s[52:55], 0 offset:104 ; 4-byte Folded Reload
	buffer_load_dword v11, off, s[52:55], 0 offset:108 ; 4-byte Folded Reload
	;; [unrolled: 1-line block ×4, first 2 shown]
	s_waitcnt vmcnt(0)
	v_add_f64 v[10:11], v[14:15], -v[10:11]
	buffer_load_dword v14, off, s[52:55], 0 offset:120 ; 4-byte Folded Reload
	buffer_load_dword v15, off, s[52:55], 0 offset:124 ; 4-byte Folded Reload
	;; [unrolled: 1-line block ×4, first 2 shown]
	v_mul_f64 v[10:11], v[10:11], s[2:3]
	s_waitcnt vmcnt(0)
	v_add_f64 v[40:41], v[18:19], -v[14:15]
	buffer_load_dword v14, off, s[52:55], 0 offset:712 ; 4-byte Folded Reload
	buffer_load_dword v15, off, s[52:55], 0 offset:716 ; 4-byte Folded Reload
	v_fma_f64 v[10:11], v[40:41], s[6:7], -v[10:11]
	s_waitcnt vmcnt(0)
	v_mul_f64 v[10:11], v[14:15], v[10:11]
	buffer_load_dword v14, off, s[52:55], 0 offset:720 ; 4-byte Folded Reload
	buffer_load_dword v15, off, s[52:55], 0 offset:724 ; 4-byte Folded Reload
	s_waitcnt vmcnt(0)
	v_fma_f64 v[8:9], v[14:15], v[8:9], -v[10:11]
	buffer_store_dword v8, off, s[52:55], 0 offset:712 ; 4-byte Folded Spill
	s_nop 0
	buffer_store_dword v9, off, s[52:55], 0 offset:716 ; 4-byte Folded Spill
	buffer_load_dword v8, off, s[52:55], 0 offset:152 ; 4-byte Folded Reload
	s_nop 0
	buffer_load_dword v9, off, s[52:55], 0 offset:156 ; 4-byte Folded Reload
	buffer_load_dword v10, off, s[52:55], 0 offset:112 ; 4-byte Folded Reload
	;; [unrolled: 1-line block ×3, first 2 shown]
	s_waitcnt vmcnt(0)
	v_add_f64 v[8:9], v[10:11], -v[8:9]
	buffer_load_dword v10, off, s[52:55], 0 offset:128 ; 4-byte Folded Reload
	buffer_load_dword v11, off, s[52:55], 0 offset:132 ; 4-byte Folded Reload
	;; [unrolled: 1-line block ×4, first 2 shown]
	v_mul_f64 v[8:9], v[8:9], s[2:3]
	s_waitcnt vmcnt(0)
	v_add_f64 v[10:11], v[14:15], -v[10:11]
	v_fma_f64 v[8:9], v[10:11], s[6:7], -v[8:9]
	buffer_load_dword v32, off, s[52:55], 0 offset:812 ; 4-byte Folded Reload
	buffer_load_dword v33, off, s[52:55], 0 offset:816 ; 4-byte Folded Reload
	buffer_load_dword v10, off, s[52:55], 0 offset:208 ; 4-byte Folded Reload
	buffer_load_dword v11, off, s[52:55], 0 offset:212 ; 4-byte Folded Reload
	buffer_load_dword v14, off, s[52:55], 0 offset:184 ; 4-byte Folded Reload
	buffer_load_dword v15, off, s[52:55], 0 offset:188 ; 4-byte Folded Reload
	buffer_load_dword v18, off, s[52:55], 0 offset:192 ; 4-byte Folded Reload
	buffer_load_dword v19, off, s[52:55], 0 offset:196 ; 4-byte Folded Reload
	s_waitcnt vmcnt(4)
	v_add_f64 v[10:11], v[32:33], -v[10:11]
	s_waitcnt vmcnt(0)
	v_add_f64 v[40:41], v[18:19], -v[14:15]
	buffer_load_dword v14, off, s[52:55], 0 offset:696 ; 4-byte Folded Reload
	buffer_load_dword v15, off, s[52:55], 0 offset:700 ; 4-byte Folded Reload
	v_mul_f64 v[10:11], v[10:11], s[2:3]
	v_fma_f64 v[10:11], v[40:41], s[6:7], -v[10:11]
	s_waitcnt vmcnt(0)
	v_mul_f64 v[10:11], v[14:15], v[10:11]
	buffer_load_dword v14, off, s[52:55], 0 offset:704 ; 4-byte Folded Reload
	buffer_load_dword v15, off, s[52:55], 0 offset:708 ; 4-byte Folded Reload
	s_waitcnt vmcnt(0)
	v_fma_f64 v[8:9], v[14:15], v[8:9], -v[10:11]
	buffer_store_dword v8, off, s[52:55], 0 offset:696 ; 4-byte Folded Spill
	s_nop 0
	buffer_store_dword v9, off, s[52:55], 0 offset:700 ; 4-byte Folded Spill
	buffer_load_dword v8, off, s[52:55], 0 offset:200 ; 4-byte Folded Reload
	s_nop 0
	buffer_load_dword v9, off, s[52:55], 0 offset:204 ; 4-byte Folded Reload
	buffer_load_dword v10, off, s[52:55], 0 offset:168 ; 4-byte Folded Reload
	;; [unrolled: 1-line block ×3, first 2 shown]
	s_waitcnt vmcnt(0)
	v_add_f64 v[8:9], v[10:11], -v[8:9]
	buffer_load_dword v10, off, s[52:55], 0 offset:160 ; 4-byte Folded Reload
	buffer_load_dword v11, off, s[52:55], 0 offset:164 ; 4-byte Folded Reload
	;; [unrolled: 1-line block ×4, first 2 shown]
	v_mul_f64 v[8:9], v[8:9], s[2:3]
	s_waitcnt vmcnt(0)
	v_add_f64 v[10:11], v[14:15], -v[10:11]
	v_fma_f64 v[8:9], v[10:11], s[6:7], -v[8:9]
	buffer_load_dword v10, off, s[52:55], 0 offset:256 ; 4-byte Folded Reload
	buffer_load_dword v11, off, s[52:55], 0 offset:260 ; 4-byte Folded Reload
	;; [unrolled: 1-line block ×4, first 2 shown]
	s_waitcnt vmcnt(0)
	v_add_f64 v[10:11], v[14:15], -v[10:11]
	buffer_load_dword v14, off, s[52:55], 0 offset:216 ; 4-byte Folded Reload
	buffer_load_dword v15, off, s[52:55], 0 offset:220 ; 4-byte Folded Reload
	;; [unrolled: 1-line block ×4, first 2 shown]
	v_mul_f64 v[10:11], v[10:11], s[2:3]
	s_waitcnt vmcnt(0)
	v_add_f64 v[40:41], v[18:19], -v[14:15]
	buffer_load_dword v14, off, s[52:55], 0 offset:16 ; 4-byte Folded Reload
	buffer_load_dword v15, off, s[52:55], 0 offset:20 ; 4-byte Folded Reload
	;; [unrolled: 1-line block ×4, first 2 shown]
	v_fma_f64 v[10:11], v[40:41], s[6:7], -v[10:11]
	s_waitcnt vmcnt(0)
	v_mul_f64 v[40:41], v[14:15], v[18:19]
	v_mul_f64 v[40:41], v[14:15], v[40:41]
	buffer_load_dword v14, off, s[52:55], 0 offset:56 ; 4-byte Folded Reload
	buffer_load_dword v15, off, s[52:55], 0 offset:60 ; 4-byte Folded Reload
	;; [unrolled: 1-line block ×4, first 2 shown]
	v_mul_f64 v[10:11], v[40:41], v[10:11]
	s_waitcnt vmcnt(0)
	v_mul_f64 v[40:41], v[14:15], v[18:19]
	v_mul_f64 v[40:41], v[14:15], v[40:41]
	v_fma_f64 v[8:9], v[40:41], v[8:9], -v[10:11]
	buffer_store_dword v8, off, s[52:55], 0 offset:704 ; 4-byte Folded Spill
	s_nop 0
	buffer_store_dword v9, off, s[52:55], 0 offset:708 ; 4-byte Folded Spill
	buffer_load_dword v8, off, s[52:55], 0 offset:272 ; 4-byte Folded Reload
	s_nop 0
	buffer_load_dword v9, off, s[52:55], 0 offset:276 ; 4-byte Folded Reload
	buffer_load_dword v10, off, s[52:55], 0 offset:264 ; 4-byte Folded Reload
	;; [unrolled: 1-line block ×3, first 2 shown]
	s_waitcnt vmcnt(0)
	v_add_f64 v[8:9], v[10:11], -v[8:9]
	buffer_load_dword v10, off, s[52:55], 0 offset:240 ; 4-byte Folded Reload
	buffer_load_dword v11, off, s[52:55], 0 offset:244 ; 4-byte Folded Reload
	;; [unrolled: 1-line block ×4, first 2 shown]
	v_mul_f64 v[8:9], v[8:9], s[2:3]
	s_waitcnt vmcnt(0)
	v_add_f64 v[10:11], v[14:15], -v[10:11]
	v_fma_f64 v[8:9], v[10:11], s[6:7], -v[8:9]
	buffer_load_dword v10, off, s[52:55], 0 offset:288 ; 4-byte Folded Reload
	buffer_load_dword v11, off, s[52:55], 0 offset:292 ; 4-byte Folded Reload
	;; [unrolled: 1-line block ×4, first 2 shown]
	s_nop 0
	buffer_store_dword v28, off, s[52:55], 0 offset:868 ; 4-byte Folded Spill
	s_nop 0
	buffer_store_dword v29, off, s[52:55], 0 offset:872 ; 4-byte Folded Spill
	s_waitcnt vmcnt(2)
	v_add_f64 v[10:11], v[14:15], -v[10:11]
	buffer_load_dword v14, off, s[52:55], 0 offset:248 ; 4-byte Folded Reload
	buffer_load_dword v15, off, s[52:55], 0 offset:252 ; 4-byte Folded Reload
	v_mul_f64 v[10:11], v[10:11], s[2:3]
	s_waitcnt vmcnt(0)
	v_add_f64 v[40:41], v[14:15], -v[28:29]
	buffer_load_dword v14, off, s[52:55], 0 offset:8 ; 4-byte Folded Reload
	buffer_load_dword v15, off, s[52:55], 0 offset:12 ; 4-byte Folded Reload
	;; [unrolled: 1-line block ×4, first 2 shown]
	v_fma_f64 v[10:11], v[40:41], s[6:7], -v[10:11]
	s_waitcnt vmcnt(0)
	v_mul_f64 v[40:41], v[14:15], v[18:19]
	v_mul_f64 v[40:41], v[14:15], v[40:41]
	buffer_load_dword v14, off, s[52:55], 0 offset:24 ; 4-byte Folded Reload
	buffer_load_dword v15, off, s[52:55], 0 offset:28 ; 4-byte Folded Reload
	;; [unrolled: 1-line block ×4, first 2 shown]
	v_mul_f64 v[10:11], v[40:41], v[10:11]
	s_waitcnt vmcnt(0)
	v_mul_f64 v[40:41], v[14:15], v[18:19]
	v_mul_f64 v[40:41], v[14:15], v[40:41]
	v_fma_f64 v[8:9], v[40:41], v[8:9], -v[10:11]
	buffer_store_dword v8, off, s[52:55], 0 offset:720 ; 4-byte Folded Spill
	s_nop 0
	buffer_store_dword v9, off, s[52:55], 0 offset:724 ; 4-byte Folded Spill
	buffer_load_dword v8, off, s[52:55], 0 offset:688 ; 4-byte Folded Reload
	s_nop 0
	buffer_load_dword v9, off, s[52:55], 0 offset:692 ; 4-byte Folded Reload
	s_nop 0
	buffer_store_dword v56, off, s[52:55], 0 offset:876 ; 4-byte Folded Spill
	s_nop 0
	buffer_store_dword v57, off, s[52:55], 0 offset:880 ; 4-byte Folded Spill
	buffer_store_dword v58, off, s[52:55], 0 offset:688 ; 4-byte Folded Spill
	s_nop 0
	buffer_store_dword v59, off, s[52:55], 0 offset:692 ; 4-byte Folded Spill
	buffer_load_dword v56, off, s[52:55], 0 offset:448 ; 4-byte Folded Reload
	s_nop 0
	buffer_load_dword v57, off, s[52:55], 0 offset:452 ; 4-byte Folded Reload
	buffer_load_dword v58, off, s[52:55], 0 offset:456 ; 4-byte Folded Reload
	;; [unrolled: 1-line block ×9, first 2 shown]
	s_waitcnt vmcnt(14)
	v_mul_f64 v[8:9], v[8:9], v[20:21]
	s_waitcnt vmcnt(8)
	v_mul_f64 v[8:9], v[56:57], v[8:9]
	;; [unrolled: 2-line block ×4, first 2 shown]
	v_mul_f64 v[10:11], v[56:57], v[10:11]
	v_mul_f64 v[10:11], v[62:63], v[10:11]
	;; [unrolled: 1-line block ×3, first 2 shown]
	v_fmac_f64_e32 v[10:11], v[16:17], v[8:9]
	v_mul_f64 v[8:9], v[24:25], v[36:37]
	v_mul_f64 v[8:9], v[56:57], v[8:9]
	v_fmac_f64_e32 v[10:11], v[50:51], v[8:9]
	buffer_store_dword v10, off, s[52:55], 0 offset:884 ; 4-byte Folded Spill
	s_nop 0
	buffer_store_dword v11, off, s[52:55], 0 offset:888 ; 4-byte Folded Spill
	buffer_load_dword v8, off, s[52:55], 0 offset:672 ; 4-byte Folded Reload
	buffer_load_dword v9, off, s[52:55], 0 offset:676 ; 4-byte Folded Reload
	;; [unrolled: 1-line block ×10, first 2 shown]
	s_waitcnt vmcnt(8)
	v_mul_f64 v[8:9], v[8:9], v[22:23]
	v_mul_f64 v[8:9], v[58:59], v[8:9]
	;; [unrolled: 1-line block ×3, first 2 shown]
	s_waitcnt vmcnt(6)
	v_mul_f64 v[8:9], v[14:15], v[46:47]
	v_mul_f64 v[8:9], v[58:59], v[8:9]
	;; [unrolled: 1-line block ×4, first 2 shown]
	v_fmac_f64_e32 v[48:49], v[100:101], v[10:11]
	s_waitcnt vmcnt(4)
	v_mul_f64 v[10:11], v[18:19], v[44:45]
	v_mul_f64 v[20:21], v[18:19], v[20:21]
	s_waitcnt vmcnt(2)
	v_mul_f64 v[44:45], v[30:31], v[38:39]
	v_mul_f64 v[38:39], v[14:15], v[38:39]
	;; [unrolled: 1-line block ×4, first 2 shown]
	v_fmac_f64_e32 v[48:49], v[64:65], v[38:39]
	v_mul_f64 v[38:39], v[62:63], v[20:21]
	v_mul_f64 v[38:39], v[26:27], v[38:39]
	;; [unrolled: 1-line block ×3, first 2 shown]
	s_waitcnt vmcnt(0)
	v_mul_f64 v[8:9], v[108:109], v[38:39]
	v_mul_f64 v[36:37], v[18:19], v[36:37]
	v_fmac_f64_e32 v[8:9], v[16:17], v[10:11]
	buffer_store_dword v8, off, s[52:55], 0 offset:600 ; 4-byte Folded Spill
	s_nop 0
	buffer_store_dword v9, off, s[52:55], 0 offset:604 ; 4-byte Folded Spill
	v_mul_f64 v[10:11], v[56:57], v[36:37]
	v_mul_f64 v[8:9], v[16:17], v[10:11]
	;; [unrolled: 1-line block ×4, first 2 shown]
	v_fmac_f64_e32 v[8:9], v[26:27], v[16:17]
	buffer_store_dword v8, off, s[52:55], 0 offset:568 ; 4-byte Folded Spill
	s_nop 0
	buffer_store_dword v9, off, s[52:55], 0 offset:572 ; 4-byte Folded Spill
	v_mul_f64 v[16:17], v[58:59], v[22:23]
	v_mul_f64 v[20:21], v[58:59], v[44:45]
	;; [unrolled: 1-line block ×5, first 2 shown]
	v_fmac_f64_e32 v[8:9], v[28:29], v[16:17]
	v_mul_f64 v[40:41], v[30:31], v[46:47]
	buffer_store_dword v8, off, s[52:55], 0 offset:672 ; 4-byte Folded Spill
	s_nop 0
	buffer_store_dword v9, off, s[52:55], 0 offset:676 ; 4-byte Folded Spill
	v_mul_f64 v[16:17], v[28:29], v[22:23]
	v_mul_f64 v[36:37], v[58:59], v[40:41]
	;; [unrolled: 1-line block ×3, first 2 shown]
	buffer_load_dword v16, off, s[52:55], 0 offset:624 ; 4-byte Folded Reload
	buffer_load_dword v17, off, s[52:55], 0 offset:628 ; 4-byte Folded Reload
	;; [unrolled: 1-line block ×22, first 2 shown]
	v_fmac_f64_e32 v[72:73], v[100:101], v[36:37]
	s_waitcnt vmcnt(16)
	v_mul_f64 v[16:17], v[16:17], v[40:41]
	s_waitcnt vmcnt(14)
	v_mul_f64 v[16:17], v[62:63], v[16:17]
	;; [unrolled: 2-line block ×4, first 2 shown]
	v_mul_f64 v[36:37], v[62:63], v[36:37]
	v_mul_f64 v[36:37], v[96:97], v[36:37]
	;; [unrolled: 1-line block ×3, first 2 shown]
	s_waitcnt vmcnt(0)
	v_mul_f64 v[26:27], v[18:19], v[40:41]
	v_fmac_f64_e32 v[36:37], v[94:95], v[16:17]
	v_mul_f64 v[16:17], v[28:29], v[10:11]
	v_mul_f64 v[34:35], v[62:63], v[26:27]
	v_mul_f64 v[16:17], v[62:63], v[16:17]
	v_mul_f64 v[26:27], v[96:97], v[34:35]
	v_fmac_f64_e32 v[36:37], v[84:85], v[16:17]
	v_mul_f64 v[16:17], v[18:19], v[22:23]
	v_mul_f64 v[26:27], v[30:31], v[26:27]
	v_mul_f64 v[16:17], v[62:63], v[16:17]
	;; [unrolled: 5-line block ×3, first 2 shown]
	buffer_load_dword v18, off, s[52:55], 0 offset:748 ; 4-byte Folded Reload
	buffer_load_dword v19, off, s[52:55], 0 offset:752 ; 4-byte Folded Reload
	;; [unrolled: 1-line block ×10, first 2 shown]
	v_mul_f64 v[16:17], v[84:85], v[34:35]
	buffer_load_dword v84, off, s[52:55], 0 offset:740 ; 4-byte Folded Reload
	buffer_load_dword v85, off, s[52:55], 0 offset:744 ; 4-byte Folded Reload
	v_fmac_f64_e32 v[26:27], v[30:31], v[16:17]
	s_waitcnt vmcnt(8)
	v_fma_f64 v[16:17], 2.0, v[18:19], v[64:65]
	s_waitcnt vmcnt(6)
	v_mul_f64 v[30:31], v[16:17], v[96:97]
	s_waitcnt vmcnt(4)
	v_mul_f64 v[34:35], v[4:5], v[94:95]
	v_mul_f64 v[34:35], v[94:95], v[34:35]
	;; [unrolled: 1-line block ×4, first 2 shown]
	s_waitcnt vmcnt(2)
	v_fma_f64 v[44:45], v[98:99], v[98:99], v[34:35]
	v_mul_f64 v[30:31], v[96:97], v[30:31]
	v_mul_f64 v[44:45], v[18:19], v[44:45]
	;; [unrolled: 1-line block ×3, first 2 shown]
	v_fmac_f64_e32 v[44:45], v[0:1], v[30:31]
	v_mul_f64 v[30:31], v[16:17], v[94:95]
	v_mul_f64 v[46:47], v[96:97], v[46:47]
	;; [unrolled: 1-line block ×4, first 2 shown]
	v_fmac_f64_e32 v[50:51], v[0:1], v[46:47]
	v_mul_f64 v[30:31], v[94:95], v[30:31]
	v_mul_f64 v[50:51], v[18:19], v[50:51]
	v_fmac_f64_e32 v[34:35], v[0:1], v[46:47]
	v_fmac_f64_e32 v[50:51], v[4:5], v[30:31]
	v_add_f64 v[30:31], v[18:19], v[64:65]
	v_mul_f64 v[34:35], v[18:19], v[34:35]
	v_mul_f64 v[16:17], v[16:17], v[98:99]
	v_fmac_f64_e32 v[34:35], v[98:99], v[16:17]
	s_waitcnt vmcnt(0)
	v_mul_f64 v[16:17], v[84:85], v[30:31]
	v_mul_f64 v[30:31], v[96:97], v[16:17]
	;; [unrolled: 1-line block ×6, first 2 shown]
	buffer_load_dword v50, off, s[52:55], 0 offset:796 ; 4-byte Folded Reload
	buffer_load_dword v51, off, s[52:55], 0 offset:800 ; 4-byte Folded Reload
	buffer_load_dword v94, off, s[52:55], 0 offset:804 ; 4-byte Folded Reload
	buffer_load_dword v95, off, s[52:55], 0 offset:808 ; 4-byte Folded Reload
	buffer_load_dword v64, off, s[52:55], 0 offset:464 ; 4-byte Folded Reload
	buffer_load_dword v65, off, s[52:55], 0 offset:468 ; 4-byte Folded Reload
	v_mul_f64 v[18:19], v[12:13], v[18:19]
	v_mul_f64 v[44:45], v[12:13], v[44:45]
	;; [unrolled: 1-line block ×5, first 2 shown]
	s_waitcnt vmcnt(4)
	v_mul_f64 v[18:19], v[50:51], v[18:19]
	s_waitcnt vmcnt(2)
	v_mul_f64 v[44:45], v[94:95], v[44:45]
	v_fmac_f64_e32 v[18:19], v[46:47], v[94:95]
	v_fmac_f64_e32 v[44:45], v[46:47], v[50:51]
	s_waitcnt vmcnt(0)
	v_mul_f64 v[46:47], v[64:65], v[16:17]
	v_mul_f64 v[16:17], v[46:47], v[94:95]
	v_fmac_f64_e32 v[16:17], v[50:51], v[30:31]
	buffer_load_dword v50, off, s[52:55], 0 offset:788 ; 4-byte Folded Reload
	buffer_load_dword v51, off, s[52:55], 0 offset:792 ; 4-byte Folded Reload
	s_waitcnt vmcnt(0)
	v_fmac_f64_e32 v[18:19], v[30:31], v[50:51]
	v_mul_f64 v[30:31], v[84:85], v[34:35]
	v_mul_f64 v[30:31], v[12:13], v[30:31]
	buffer_load_dword v10, off, s[52:55], 0 offset:80 ; 4-byte Folded Reload
	buffer_load_dword v11, off, s[52:55], 0 offset:84 ; 4-byte Folded Reload
	;; [unrolled: 1-line block ×4, first 2 shown]
	v_fmac_f64_e32 v[44:45], v[46:47], v[50:51]
	v_fmac_f64_e32 v[16:17], v[50:51], v[30:31]
	v_mul_f64 v[30:31], v[28:29], v[62:63]
	v_mul_f64 v[30:31], v[62:63], v[30:31]
	v_add_f64 v[44:45], v[74:75], v[44:45]
	v_add_f64 v[18:19], v[92:93], v[18:19]
	s_waitcnt vmcnt(0)
	v_add_f64 v[34:35], v[12:13], -v[10:11]
	buffer_load_dword v10, off, s[52:55], 0 offset:112 ; 4-byte Folded Reload
	buffer_load_dword v11, off, s[52:55], 0 offset:116 ; 4-byte Folded Reload
	v_mul_f64 v[34:35], v[34:35], s[2:3]
	s_waitcnt vmcnt(0)
	v_add_f64 v[46:47], v[10:11], -v[32:33]
	buffer_load_dword v10, off, s[52:55], 0 offset:88 ; 4-byte Folded Reload
	buffer_load_dword v11, off, s[52:55], 0 offset:92 ; 4-byte Folded Reload
	;; [unrolled: 1-line block ×4, first 2 shown]
	v_fma_f64 v[34:35], v[46:47], s[6:7], -v[34:35]
	s_waitcnt vmcnt(0)
	v_add_f64 v[46:47], v[10:11], -v[12:13]
	buffer_load_dword v10, off, s[52:55], 0 offset:152 ; 4-byte Folded Reload
	buffer_load_dword v11, off, s[52:55], 0 offset:156 ; 4-byte Folded Reload
	;; [unrolled: 1-line block ×4, first 2 shown]
	v_mul_f64 v[46:47], v[46:47], s[2:3]
	buffer_load_dword v84, off, s[52:55], 0 offset:496 ; 4-byte Folded Reload
	buffer_load_dword v85, off, s[52:55], 0 offset:500 ; 4-byte Folded Reload
	s_waitcnt vmcnt(2)
	v_add_f64 v[50:51], v[10:11], -v[12:13]
	v_fma_f64 v[46:47], v[50:51], s[6:7], -v[46:47]
	v_mul_f64 v[50:51], v[24:25], v[56:57]
	v_mul_f64 v[12:13], v[56:57], v[50:51]
	;; [unrolled: 1-line block ×3, first 2 shown]
	buffer_load_dword v46, off, s[52:55], 0 offset:504 ; 4-byte Folded Reload
	buffer_load_dword v47, off, s[52:55], 0 offset:508 ; 4-byte Folded Reload
	;; [unrolled: 1-line block ×8, first 2 shown]
	v_fma_f64 v[30:31], v[30:31], v[34:35], -v[12:13]
	s_waitcnt vmcnt(8)
	v_mul_f64 v[28:29], v[84:85], v[8:9]
	v_mul_f64 v[12:13], v[84:85], v[20:21]
	s_waitcnt vmcnt(6)
	v_mul_f64 v[32:33], v[46:47], v[20:21]
	s_waitcnt vmcnt(4)
	v_mul_f64 v[34:35], v[24:25], v[38:39]
	v_mul_f64 v[24:25], v[46:47], v[38:39]
	;; [unrolled: 1-line block ×3, first 2 shown]
	buffer_load_dword v8, off, s[52:55], 0 offset:72 ; 4-byte Folded Reload
	buffer_load_dword v9, off, s[52:55], 0 offset:76 ; 4-byte Folded Reload
	buffer_load_dword v10, off, s[52:55], 0 offset:96 ; 4-byte Folded Reload
	buffer_load_dword v11, off, s[52:55], 0 offset:100 ; 4-byte Folded Reload
	s_waitcnt vmcnt(4)
	v_pk_mov_b32 v[56:57], v[96:97], v[96:97] op_sel:[0,1]
	v_mul_f64 v[50:51], v[56:57], v[34:35]
	v_mul_f64 v[34:35], v[14:15], v[58:59]
	;; [unrolled: 1-line block ×3, first 2 shown]
	v_pk_mov_b32 v[58:59], v[64:65], v[64:65] op_sel:[0,1]
	v_mul_f64 v[62:63], v[56:57], v[12:13]
	v_mul_f64 v[12:13], v[84:85], v[56:57]
	;; [unrolled: 1-line block ×7, first 2 shown]
	s_waitcnt vmcnt(0)
	v_add_f64 v[34:35], v[8:9], -v[10:11]
	buffer_load_dword v8, off, s[52:55], 0 offset:144 ; 4-byte Folded Reload
	buffer_load_dword v9, off, s[52:55], 0 offset:148 ; 4-byte Folded Reload
	;; [unrolled: 1-line block ×4, first 2 shown]
	v_mul_f64 v[34:35], v[34:35], s[2:3]
	s_waitcnt vmcnt(0)
	v_add_f64 v[64:65], v[8:9], -v[10:11]
	buffer_load_dword v8, off, s[52:55], 0 offset:120 ; 4-byte Folded Reload
	buffer_load_dword v9, off, s[52:55], 0 offset:124 ; 4-byte Folded Reload
	;; [unrolled: 1-line block ×4, first 2 shown]
	v_fma_f64 v[34:35], v[64:65], s[6:7], -v[34:35]
	s_waitcnt vmcnt(0)
	v_add_f64 v[64:65], v[10:11], -v[8:9]
	buffer_load_dword v8, off, s[52:55], 0 offset:128 ; 4-byte Folded Reload
	buffer_load_dword v9, off, s[52:55], 0 offset:132 ; 4-byte Folded Reload
	buffer_load_dword v10, off, s[52:55], 0 offset:184 ; 4-byte Folded Reload
	buffer_load_dword v11, off, s[52:55], 0 offset:188 ; 4-byte Folded Reload
	v_mul_f64 v[64:65], v[64:65], s[2:3]
	s_waitcnt vmcnt(0)
	v_add_f64 v[84:85], v[8:9], -v[10:11]
	buffer_load_dword v8, off, s[52:55], 0 offset:168 ; 4-byte Folded Reload
	buffer_load_dword v9, off, s[52:55], 0 offset:172 ; 4-byte Folded Reload
	;; [unrolled: 1-line block ×4, first 2 shown]
	v_fma_f64 v[64:65], v[84:85], s[6:7], -v[64:65]
	v_mul_f64 v[14:15], v[14:15], v[64:65]
	v_fma_f64 v[14:15], v[12:13], v[34:35], -v[14:15]
	s_waitcnt vmcnt(0)
	v_add_f64 v[12:13], v[8:9], -v[10:11]
	buffer_load_dword v8, off, s[52:55], 0 offset:264 ; 4-byte Folded Reload
	buffer_load_dword v9, off, s[52:55], 0 offset:268 ; 4-byte Folded Reload
	buffer_load_dword v10, off, s[52:55], 0 offset:280 ; 4-byte Folded Reload
	buffer_load_dword v11, off, s[52:55], 0 offset:284 ; 4-byte Folded Reload
	v_mul_f64 v[12:13], v[12:13], s[2:3]
	s_waitcnt vmcnt(0)
	v_add_f64 v[34:35], v[8:9], -v[10:11]
	buffer_load_dword v8, off, s[52:55], 0 offset:200 ; 4-byte Folded Reload
	buffer_load_dword v9, off, s[52:55], 0 offset:204 ; 4-byte Folded Reload
	;; [unrolled: 1-line block ×4, first 2 shown]
	v_fma_f64 v[12:13], v[34:35], s[6:7], -v[12:13]
	s_waitcnt vmcnt(0)
	v_add_f64 v[34:35], v[8:9], -v[10:11]
	buffer_load_dword v8, off, s[52:55], 0 offset:272 ; 4-byte Folded Reload
	buffer_load_dword v9, off, s[52:55], 0 offset:276 ; 4-byte Folded Reload
	;; [unrolled: 1-line block ×6, first 2 shown]
	v_mul_f64 v[34:35], v[34:35], s[2:3]
	s_waitcnt vmcnt(2)
	v_add_f64 v[64:65], v[8:9], -v[10:11]
	v_fma_f64 v[34:35], v[64:65], s[6:7], -v[34:35]
	s_waitcnt vmcnt(0)
	v_mul_f64 v[34:35], v[56:57], v[34:35]
	buffer_load_dword v56, off, s[52:55], 0 offset:680 ; 4-byte Folded Reload
	buffer_load_dword v57, off, s[52:55], 0 offset:684 ; 4-byte Folded Reload
	buffer_load_dword v8, off, s[52:55], 0 offset:712 ; 4-byte Folded Reload
	buffer_load_dword v9, off, s[52:55], 0 offset:716 ; 4-byte Folded Reload
	v_mul_f64 v[10:11], v[90:91], v[46:47]
	s_waitcnt vmcnt(2)
	v_fma_f64 v[64:65], v[56:57], v[12:13], -v[34:35]
	s_waitcnt vmcnt(0)
	v_mul_f64 v[12:13], v[8:9], s[2:3]
	buffer_load_dword v8, off, s[52:55], 0 offset:696 ; 4-byte Folded Reload
	buffer_load_dword v9, off, s[52:55], 0 offset:700 ; 4-byte Folded Reload
	s_waitcnt vmcnt(0)
	v_fma_f64 v[12:13], v[8:9], s[6:7], -v[12:13]
	buffer_load_dword v8, off, s[52:55], 0 offset:704 ; 4-byte Folded Reload
	buffer_load_dword v9, off, s[52:55], 0 offset:708 ; 4-byte Folded Reload
	v_add_f64 v[12:13], v[18:19], v[12:13]
	s_waitcnt vmcnt(0)
	v_mul_f64 v[34:35], v[8:9], s[2:3]
	buffer_load_dword v8, off, s[52:55], 0 offset:720 ; 4-byte Folded Reload
	buffer_load_dword v9, off, s[52:55], 0 offset:724 ; 4-byte Folded Reload
	s_waitcnt vmcnt(0)
	v_fma_f64 v[34:35], v[8:9], s[6:7], -v[34:35]
	buffer_load_dword v8, off, s[52:55], 0 offset:884 ; 4-byte Folded Reload
	buffer_load_dword v9, off, s[52:55], 0 offset:888 ; 4-byte Folded Reload
	v_add_f64 v[34:35], v[44:45], v[34:35]
	v_mul_f64 v[44:45], v[126:127], v[62:63]
	v_mul_f64 v[44:45], v[4:5], v[44:45]
	s_waitcnt vmcnt(0)
	v_add_f64 v[18:19], v[36:37], -v[8:9]
	v_mul_f64 v[36:37], v[2:3], v[50:51]
	v_fmac_f64_e32 v[44:45], v[90:91], v[36:37]
	v_fmac_f64_e32 v[44:45], v[116:117], v[28:29]
	v_add_f64 v[8:9], v[44:45], -v[48:49]
	v_mul_f64 v[18:19], v[18:19], s[2:3]
	v_fma_f64 v[36:37], v[8:9], s[6:7], -v[18:19]
	buffer_load_dword v8, off, s[52:55], 0 offset:600 ; 4-byte Folded Reload
	buffer_load_dword v9, off, s[52:55], 0 offset:604 ; 4-byte Folded Reload
	v_mul_f64 v[18:19], v[126:127], v[24:25]
	v_mul_f64 v[18:19], v[2:3], v[18:19]
	;; [unrolled: 1-line block ×3, first 2 shown]
	v_fmac_f64_e32 v[18:19], v[90:91], v[32:33]
	v_add_f64 v[18:19], v[18:19], -v[72:73]
	s_waitcnt vmcnt(0)
	v_add_f64 v[8:9], v[22:23], -v[8:9]
	v_mul_f64 v[8:9], v[8:9], s[2:3]
	v_fma_f64 v[38:39], v[18:19], s[6:7], -v[8:9]
	buffer_load_dword v8, off, s[52:55], 0 offset:568 ; 4-byte Folded Reload
	buffer_load_dword v9, off, s[52:55], 0 offset:572 ; 4-byte Folded Reload
	v_mul_f64 v[18:19], v[116:117], v[24:25]
	v_fmac_f64_e32 v[10:11], v[2:3], v[18:19]
	buffer_load_dword v2, off, s[52:55], 0 offset:672 ; 4-byte Folded Reload
	buffer_load_dword v3, off, s[52:55], 0 offset:676 ; 4-byte Folded Reload
	s_waitcnt vmcnt(2)
	v_add_f64 v[8:9], v[26:27], -v[8:9]
	v_mul_f64 v[8:9], v[8:9], s[2:3]
	s_waitcnt vmcnt(0)
	v_add_f64 v[2:3], v[10:11], -v[2:3]
	v_fma_f64 v[40:41], v[2:3], s[6:7], -v[8:9]
	v_mul_f64 v[2:3], v[30:31], s[2:3]
	v_fma_f64 v[44:45], v[14:15], s[6:7], -v[2:3]
	buffer_load_dword v2, off, s[52:55], 0 offset:136 ; 4-byte Folded Reload
	buffer_load_dword v3, off, s[52:55], 0 offset:140 ; 4-byte Folded Reload
	;; [unrolled: 1-line block ×4, first 2 shown]
	v_add_f64 v[12:13], v[44:45], v[12:13]
	v_fmac_f64_e32 v[12:13], v[108:109], v[36:37]
	s_waitcnt vmcnt(0)
	v_add_f64 v[2:3], v[2:3], -v[8:9]
	buffer_load_dword v8, off, s[52:55], 0 offset:224 ; 4-byte Folded Reload
	buffer_load_dword v9, off, s[52:55], 0 offset:228 ; 4-byte Folded Reload
	buffer_load_dword v10, off, s[52:55], 0 offset:248 ; 4-byte Folded Reload
	buffer_load_dword v11, off, s[52:55], 0 offset:252 ; 4-byte Folded Reload
	v_mul_f64 v[2:3], v[2:3], s[2:3]
	s_waitcnt vmcnt(0)
	v_add_f64 v[8:9], v[8:9], -v[10:11]
	v_fma_f64 v[8:9], v[8:9], s[6:7], -v[2:3]
	buffer_load_dword v2, off, s[52:55], 0 offset:160 ; 4-byte Folded Reload
	buffer_load_dword v3, off, s[52:55], 0 offset:164 ; 4-byte Folded Reload
	;; [unrolled: 1-line block ×4, first 2 shown]
	s_waitcnt vmcnt(0)
	v_add_f64 v[2:3], v[2:3], -v[10:11]
	buffer_load_dword v10, off, s[52:55], 0 offset:240 ; 4-byte Folded Reload
	buffer_load_dword v11, off, s[52:55], 0 offset:244 ; 4-byte Folded Reload
	;; [unrolled: 1-line block ×4, first 2 shown]
	v_mul_f64 v[2:3], v[2:3], s[2:3]
	s_waitcnt vmcnt(0)
	v_add_f64 v[10:11], v[10:11], -v[14:15]
	v_fma_f64 v[2:3], v[10:11], s[6:7], -v[2:3]
	buffer_load_dword v10, off, s[52:55], 0 offset:616 ; 4-byte Folded Reload
	buffer_load_dword v11, off, s[52:55], 0 offset:620 ; 4-byte Folded Reload
	s_waitcnt vmcnt(0)
	v_mul_f64 v[10:11], v[10:11], v[2:3]
	buffer_load_dword v2, off, s[52:55], 0 offset:664 ; 4-byte Folded Reload
	buffer_load_dword v3, off, s[52:55], 0 offset:668 ; 4-byte Folded Reload
	;; [unrolled: 1-line block ×14, first 2 shown]
	s_waitcnt vmcnt(13)
	v_add_co_u32_e32 v2, vcc, s14, v2
	s_waitcnt vmcnt(12)
	v_addc_co_u32_e32 v3, vcc, v43, v3, vcc
	s_waitcnt vmcnt(11)
	v_add_co_u32_e32 v14, vcc, s14, v14
	s_waitcnt vmcnt(10)
	v_addc_co_u32_e32 v15, vcc, v43, v15, vcc
	;; [unrolled: 4-line block ×7, first 2 shown]
	buffer_load_dword v26, off, s[52:55], 0 offset:544 ; 4-byte Folded Reload
	buffer_load_dword v27, off, s[52:55], 0 offset:548 ; 4-byte Folded Reload
	s_waitcnt vmcnt(1)
	v_add_co_u32_e32 v50, vcc, s14, v26
	buffer_load_dword v26, off, s[52:55], 0 offset:436 ; 4-byte Folded Reload
	s_waitcnt vmcnt(1)
	v_addc_co_u32_e32 v51, vcc, v43, v27, vcc
	s_waitcnt vmcnt(0)
	v_add_u32_e32 v26, s1, v26
	v_ashrrev_i32_e32 v27, 31, v26
	v_lshlrev_b64 v[26:27], 3, v[26:27]
	v_add_co_u32_e32 v62, vcc, s14, v26
	v_addc_co_u32_e32 v63, vcc, v43, v27, vcc
	global_load_dwordx2 v[30:31], v[2:3], off
	global_load_dwordx2 v[32:33], v[14:15], off
	;; [unrolled: 1-line block ×4, first 2 shown]
	s_nop 0
	global_load_dwordx2 v[22:23], v[22:23], off
	s_nop 0
	global_load_dwordx2 v[24:25], v[24:25], off
	s_nop 0
	global_load_dwordx2 v[14:15], v[46:47], off
	global_load_dwordx2 v[20:21], v[50:51], off
	global_load_dwordx2 v[18:19], v[62:63], off
	s_nop 0
	buffer_load_dword v46, off, s[52:55], 0 offset:472 ; 4-byte Folded Reload
	buffer_load_dword v47, off, s[52:55], 0 offset:476 ; 4-byte Folded Reload
	v_mul_f64 v[2:3], v[64:65], s[2:3]
	s_waitcnt vmcnt(0)
	v_fma_f64 v[8:9], v[46:47], v[8:9], -v[10:11]
	v_fma_f64 v[10:11], v[8:9], s[6:7], -v[2:3]
	buffer_load_dword v2, off, s[52:55], 0 offset:416 ; 4-byte Folded Reload
	v_add_f64 v[10:11], v[10:11], v[34:35]
	v_add_f64 v[10:11], v[10:11], v[38:39]
	s_waitcnt vmcnt(0)
	v_add_u32_e32 v2, s1, v2
	v_ashrrev_i32_e32 v3, 31, v2
	v_lshlrev_b64 v[2:3], 3, v[2:3]
	v_add_co_u32_e32 v2, vcc, s14, v2
	v_addc_co_u32_e32 v3, vcc, v43, v3, vcc
	global_load_dwordx2 v[8:9], v[2:3], off
	v_add_f64 v[2:3], v[104:105], v[16:17]
	buffer_load_dword v16, off, s[52:55], 0 offset:412 ; 4-byte Folded Reload
	v_fmac_f64_e32 v[2:3], v[108:109], v[40:41]
	s_waitcnt vmcnt(0)
	v_add_u32_e32 v16, s1, v16
	v_ashrrev_i32_e32 v17, 31, v16
	v_lshlrev_b64 v[16:17], 3, v[16:17]
	v_add_co_u32_e32 v16, vcc, s14, v16
	v_addc_co_u32_e32 v17, vcc, v43, v17, vcc
	global_load_dwordx2 v[16:17], v[16:17], off
	s_nop 0
	buffer_load_dword v94, off, s[52:55], 0 offset:404 ; 4-byte Folded Reload
	buffer_load_dword v95, off, s[52:55], 0 offset:408 ; 4-byte Folded Reload
	buffer_load_dword v104, off, s[52:55], 0 offset:56 ; 4-byte Folded Reload
	buffer_load_dword v105, off, s[52:55], 0 offset:60 ; 4-byte Folded Reload
	buffer_load_dword v84, off, s[52:55], 0 offset:396 ; 4-byte Folded Reload
	buffer_load_dword v85, off, s[52:55], 0 offset:400 ; 4-byte Folded Reload
	buffer_load_dword v38, off, s[52:55], 0 offset:376 ; 4-byte Folded Reload
	s_waitcnt vmcnt(5)
	v_mul_f64 v[34:35], v[94:95], v[30:31]
	s_waitcnt vmcnt(3)
	v_mul_f64 v[34:35], v[104:105], v[34:35]
	v_mul_f64 v[36:37], v[78:79], v[34:35]
	s_waitcnt vmcnt(0)
	v_add_u32_e32 v38, s1, v38
	v_ashrrev_i32_e32 v39, 31, v38
	v_lshlrev_b64 v[38:39], 3, v[38:39]
	v_add_co_u32_e32 v38, vcc, s14, v38
	v_addc_co_u32_e32 v39, vcc, v43, v39, vcc
	global_load_dwordx2 v[38:39], v[38:39], off
	s_nop 0
	buffer_load_dword v48, off, s[52:55], 0 offset:352 ; 4-byte Folded Reload
	buffer_load_dword v49, off, s[52:55], 0 offset:356 ; 4-byte Folded Reload
	;; [unrolled: 1-line block ×16, first 2 shown]
	v_mul_f64 v[36:37], v[84:85], v[36:37]
	v_mul_f64 v[40:41], v[94:95], v[32:33]
	;; [unrolled: 1-line block ×4, first 2 shown]
	v_fmac_f64_e32 v[36:37], v[122:123], v[40:41]
	buffer_load_dword v56, off, s[52:55], 0 offset:64 ; 4-byte Folded Reload
	buffer_load_dword v57, off, s[52:55], 0 offset:68 ; 4-byte Folded Reload
	s_waitcnt vmcnt(16)
	v_mul_f64 v[40:41], v[48:49], v[26:27]
	s_waitcnt vmcnt(14)
	v_mul_f64 v[40:41], v[98:99], v[40:41]
	v_mul_f64 v[44:45], v[76:77], v[40:41]
	s_waitcnt vmcnt(12)
	v_mul_f64 v[44:45], v[90:91], v[44:45]
	v_mul_f64 v[46:47], v[48:49], v[28:29]
	v_mul_f64 v[44:45], v[58:59], v[44:45]
	v_mul_f64 v[46:47], v[98:99], v[46:47]
	v_fmac_f64_e32 v[44:45], v[124:125], v[46:47]
	v_add_f64 v[36:37], v[36:37], -v[44:45]
	s_waitcnt vmcnt(8)
	v_mul_f64 v[44:45], v[74:75], v[22:23]
	s_waitcnt vmcnt(6)
	v_mul_f64 v[44:45], v[100:101], v[44:45]
	v_mul_f64 v[46:47], v[54:55], v[44:45]
	;; [unrolled: 1-line block ×6, first 2 shown]
	v_fmac_f64_e32 v[46:47], v[102:103], v[50:51]
	s_waitcnt vmcnt(4)
	v_mul_f64 v[50:51], v[72:73], v[14:15]
	s_waitcnt vmcnt(2)
	v_mul_f64 v[50:51], v[96:97], v[50:51]
	v_mul_f64 v[62:63], v[52:53], v[50:51]
	;; [unrolled: 1-line block ×6, first 2 shown]
	v_fmac_f64_e32 v[62:63], v[60:61], v[64:65]
	v_mul_f64 v[36:37], v[36:37], s[2:3]
	v_add_f64 v[46:47], v[46:47], -v[62:63]
	v_fma_f64 v[36:37], v[46:47], s[6:7], -v[36:37]
	v_add_f64 v[12:13], v[12:13], v[36:37]
	buffer_load_dword v36, off, s[52:55], 0 offset:420 ; 4-byte Folded Reload
	buffer_load_dword v37, off, s[52:55], 0 offset:424 ; 4-byte Folded Reload
	v_pk_mov_b32 v[46:47], v[104:105], v[104:105] op_sel:[0,1]
	s_waitcnt vmcnt(2)
	v_mul_f64 v[32:33], v[56:57], v[32:33]
	v_mul_f64 v[32:33], v[46:47], v[32:33]
	s_waitcnt vmcnt(0)
	v_mul_f64 v[30:31], v[36:37], v[30:31]
	v_mul_f64 v[30:31], v[46:47], v[30:31]
	;; [unrolled: 1-line block ×5, first 2 shown]
	v_fmac_f64_e32 v[30:31], v[78:79], v[32:33]
	v_mul_f64 v[32:33], v[56:57], v[18:19]
	v_mul_f64 v[32:33], v[46:47], v[32:33]
	;; [unrolled: 1-line block ×3, first 2 shown]
	v_fmac_f64_e32 v[30:31], v[58:59], v[32:33]
	buffer_load_dword v56, off, s[52:55], 0 offset:40 ; 4-byte Folded Reload
	buffer_load_dword v57, off, s[52:55], 0 offset:44 ; 4-byte Folded Reload
	;; [unrolled: 1-line block ×4, first 2 shown]
	v_pk_mov_b32 v[36:37], v[98:99], v[98:99] op_sel:[0,1]
	v_mul_f64 v[18:19], v[94:95], v[18:19]
	v_mul_f64 v[18:19], v[46:47], v[18:19]
	;; [unrolled: 1-line block ×3, first 2 shown]
	s_waitcnt vmcnt(2)
	v_mul_f64 v[28:29], v[56:57], v[28:29]
	s_waitcnt vmcnt(0)
	v_mul_f64 v[26:27], v[32:33], v[26:27]
	v_mul_f64 v[26:27], v[36:37], v[26:27]
	;; [unrolled: 1-line block ×6, first 2 shown]
	v_fmac_f64_e32 v[26:27], v[76:77], v[28:29]
	v_mul_f64 v[28:29], v[56:57], v[8:9]
	v_mul_f64 v[28:29], v[36:37], v[28:29]
	v_mul_f64 v[28:29], v[120:121], v[28:29]
	v_fmac_f64_e32 v[26:27], v[58:59], v[28:29]
	buffer_load_dword v32, off, s[52:55], 0 offset:48 ; 4-byte Folded Reload
	buffer_load_dword v33, off, s[52:55], 0 offset:52 ; 4-byte Folded Reload
	buffer_load_dword v28, off, s[52:55], 0 offset:388 ; 4-byte Folded Reload
	buffer_load_dword v29, off, s[52:55], 0 offset:392 ; 4-byte Folded Reload
	v_add_f64 v[26:27], v[30:31], -v[26:27]
	v_pk_mov_b32 v[30:31], v[100:101], v[100:101] op_sel:[0,1]
	v_mul_f64 v[26:27], v[26:27], s[2:3]
	v_mul_f64 v[8:9], v[48:49], v[8:9]
	;; [unrolled: 1-line block ×4, first 2 shown]
	v_subrev_u32_e32 v36, s30, v111
	v_mov_b32_e32 v56, v110
	s_waitcnt vmcnt(2)
	v_mul_f64 v[24:25], v[32:33], v[24:25]
	s_waitcnt vmcnt(0)
	v_mul_f64 v[22:23], v[28:29], v[22:23]
	v_mul_f64 v[22:23], v[30:31], v[22:23]
	;; [unrolled: 1-line block ×6, first 2 shown]
	v_fmac_f64_e32 v[22:23], v[54:55], v[24:25]
	v_mul_f64 v[24:25], v[32:33], v[16:17]
	v_mul_f64 v[24:25], v[30:31], v[24:25]
	;; [unrolled: 1-line block ×3, first 2 shown]
	v_fmac_f64_e32 v[22:23], v[58:59], v[24:25]
	buffer_load_dword v32, off, s[52:55], 0 offset:32 ; 4-byte Folded Reload
	buffer_load_dword v33, off, s[52:55], 0 offset:36 ; 4-byte Folded Reload
	;; [unrolled: 1-line block ×4, first 2 shown]
	v_pk_mov_b32 v[28:29], v[96:97], v[96:97] op_sel:[0,1]
	v_mul_f64 v[16:17], v[74:75], v[16:17]
	v_mul_f64 v[16:17], v[30:31], v[16:17]
	;; [unrolled: 1-line block ×3, first 2 shown]
	s_waitcnt vmcnt(2)
	v_mul_f64 v[20:21], v[32:33], v[20:21]
	s_waitcnt vmcnt(0)
	v_mul_f64 v[14:15], v[24:25], v[14:15]
	v_mul_f64 v[14:15], v[28:29], v[14:15]
	;; [unrolled: 1-line block ×6, first 2 shown]
	v_fmac_f64_e32 v[14:15], v[52:53], v[20:21]
	v_mul_f64 v[20:21], v[32:33], v[38:39]
	v_mul_f64 v[20:21], v[28:29], v[20:21]
	v_mul_f64 v[20:21], v[68:69], v[20:21]
	v_fmac_f64_e32 v[14:15], v[58:59], v[20:21]
	v_add_f64 v[14:15], v[22:23], -v[14:15]
	v_fma_f64 v[14:15], v[14:15], s[6:7], -v[26:27]
	v_add_f64 v[14:15], v[10:11], v[14:15]
	v_mul_f64 v[10:11], v[106:107], v[34:35]
	v_fmac_f64_e32 v[18:19], v[84:85], v[10:11]
	v_mul_f64 v[10:11], v[120:121], v[40:41]
	v_fmac_f64_e32 v[8:9], v[90:91], v[10:11]
	;; [unrolled: 2-line block ×3, first 2 shown]
	v_mul_f64 v[10:11], v[72:73], v[38:39]
	v_mul_f64 v[10:11], v[28:29], v[10:11]
	;; [unrolled: 1-line block ×4, first 2 shown]
	v_add_f64 v[8:9], v[18:19], -v[8:9]
	v_fmac_f64_e32 v[10:11], v[92:93], v[6:7]
	v_mul_f64 v[8:9], v[8:9], s[2:3]
	v_add_f64 v[6:7], v[16:17], -v[10:11]
	v_fma_f64 v[6:7], v[6:7], s[6:7], -v[8:9]
	v_fmac_f64_e32 v[2:3], v[58:59], v[6:7]
	buffer_load_dword v6, off, s[52:55], 0 offset:728 ; 4-byte Folded Reload
	s_waitcnt vmcnt(0)
	v_subrev_u32_e32 v37, s30, v6
	buffer_load_dword v6, off, s[52:55], 0 offset:736 ; 4-byte Folded Reload
	s_waitcnt vmcnt(0)
	v_subrev_u32_e32 v38, s30, v6
	;; [unrolled: 3-line block ×3, first 2 shown]
.LBB0_10:                               ; =>This Inner Loop Header: Depth=1
	v_add_u32_e32 v6, s16, v56
	v_add_u32_e32 v8, s33, v38
	v_ashrrev_i32_e32 v7, 31, v6
	v_ashrrev_i32_e32 v9, 31, v8
	v_lshlrev_b64 v[60:61], 3, v[6:7]
	v_lshlrev_b64 v[6:7], 3, v[8:9]
	v_mov_b32_e32 v43, s11
	v_add_co_u32_e64 v62, s[0:1], s10, v6
	v_add_u32_e32 v10, s33, v39
	v_addc_co_u32_e64 v63, s[0:1], v43, v7, s[0:1]
	v_mov_b32_e32 v44, s13
	v_ashrrev_i32_e32 v11, 31, v10
	v_add_co_u32_e64 v64, s[0:1], s12, v6
	v_lshlrev_b64 v[8:9], 3, v[10:11]
	v_addc_co_u32_e64 v65, s[0:1], v44, v7, s[0:1]
	v_mov_b32_e32 v45, s15
	v_add_co_u32_e64 v68, s[0:1], s14, v8
	v_addc_co_u32_e64 v69, s[0:1], v45, v9, s[0:1]
	v_add_co_u32_e64 v72, s[0:1], s14, v6
	v_add_u32_e32 v16, s33, v36
	v_addc_co_u32_e64 v73, s[0:1], v45, v7, s[0:1]
	v_mov_b32_e32 v41, s9
	v_ashrrev_i32_e32 v17, 31, v16
	v_add_co_u32_e64 v74, s[0:1], s8, v6
	v_lshlrev_b64 v[10:11], 3, v[16:17]
	v_addc_co_u32_e64 v75, s[0:1], v41, v7, s[0:1]
	v_add_co_u32_e64 v76, s[0:1], s14, v10
	v_add_u32_e32 v18, s33, v37
	v_addc_co_u32_e64 v77, s[0:1], v45, v11, s[0:1]
	v_ashrrev_i32_e32 v19, 31, v18
	v_add_co_u32_e64 v78, s[0:1], s8, v8
	v_lshlrev_b64 v[16:17], 3, v[18:19]
	v_addc_co_u32_e64 v79, s[0:1], v41, v9, s[0:1]
	v_add_co_u32_e64 v44, s[0:1], s14, v16
	v_add_u32_e32 v20, s33, v70
	v_addc_co_u32_e64 v45, s[0:1], v45, v17, s[0:1]
	v_ashrrev_i32_e32 v21, 31, v20
	v_add_co_u32_e64 v10, s[0:1], s8, v10
	v_add_u32_e32 v22, s33, v112
	v_lshlrev_b64 v[18:19], 3, v[20:21]
	v_addc_co_u32_e64 v11, s[0:1], v41, v11, s[0:1]
	v_ashrrev_i32_e32 v23, 31, v22
	v_add_co_u32_e64 v84, s[0:1], s8, v18
	v_add_u32_e32 v24, s33, v80
	v_lshlrev_b64 v[20:21], 3, v[22:23]
	;; [unrolled: 5-line block ×11, first 2 shown]
	v_addc_co_u32_e64 v47, s[0:1], v41, v47, s[0:1]
	v_ashrrev_i32_e32 v55, 31, v54
	v_add_co_u32_e64 v50, s[0:1], s8, v50
	v_lshlrev_b64 v[52:53], 3, v[54:55]
	v_addc_co_u32_e64 v51, s[0:1], v41, v51, s[0:1]
	v_add_co_u32_e64 v52, s[0:1], s8, v52
	v_addc_co_u32_e64 v53, s[0:1], v41, v53, s[0:1]
	global_load_dwordx2 v[62:63], v[62:63], off
	s_nop 0
	global_load_dwordx2 v[64:65], v[64:65], off
	s_nop 0
	;; [unrolled: 2-line block ×4, first 2 shown]
	global_load_dwordx4 v[6:9], v[74:75], off offset:8
	global_load_dwordx4 v[16:19], v[74:75], off offset:-16
	s_nop 0
	global_load_dwordx2 v[74:75], v[76:77], off
	global_load_dwordx4 v[20:23], v[78:79], off offset:8
	global_load_dwordx4 v[24:27], v[78:79], off offset:-16
	s_nop 0
	global_load_dwordx2 v[44:45], v[44:45], off
	s_nop 0
	global_load_dwordx4 v[28:31], v[10:11], off offset:8
	global_load_dwordx4 v[32:35], v[10:11], off offset:-16
	s_nop 0
	global_load_dwordx2 v[10:11], v[84:85], off
	global_load_dwordx2 v[76:77], v[86:87], off
	global_load_dwordx2 v[78:79], v[90:91], off
	s_nop 0
	global_load_dwordx2 v[84:85], v[92:93], off
	global_load_dwordx2 v[86:87], v[94:95], off
	global_load_dwordx2 v[90:91], v[96:97], off
	;; [unrolled: 4-line block ×3, first 2 shown]
	s_nop 0
	global_load_dwordx2 v[46:47], v[46:47], off
	s_nop 0
	global_load_dwordx2 v[50:51], v[50:51], off
	;; [unrolled: 2-line block ×3, first 2 shown]
	v_mov_b32_e32 v40, s23
	v_add_co_u32_e32 v54, vcc, s22, v60
	v_addc_co_u32_e32 v55, vcc, v40, v61, vcc
	global_load_dwordx2 v[40:41], v[54:55], off
	s_add_i32 s16, s16, 6
	v_add_u32_e32 v71, s25, v71
	v_add_u32_e32 v88, s25, v88
	;; [unrolled: 1-line block ×16, first 2 shown]
	s_cmp_eq_u32 s16, 47
	s_waitcnt vmcnt(23)
	v_fma_f64 v[54:55], 2.0, v[62:63], v[64:65]
	s_waitcnt vmcnt(19)
	v_add_f64 v[8:9], v[8:9], -v[16:17]
	v_add_f64 v[6:7], v[6:7], -v[18:19]
	s_waitcnt vmcnt(18)
	v_mul_f64 v[16:17], v[62:63], v[74:75]
	s_waitcnt vmcnt(16)
	v_add_f64 v[18:19], v[22:23], -v[24:25]
	v_add_f64 v[20:21], v[20:21], -v[26:27]
	s_waitcnt vmcnt(15)
	v_mul_f64 v[22:23], v[62:63], v[44:45]
	s_waitcnt vmcnt(13)
	v_add_f64 v[24:25], v[30:31], -v[32:33]
	v_mul_f64 v[62:63], v[62:63], v[68:69]
	v_mul_f64 v[8:9], v[8:9], s[2:3]
	;; [unrolled: 1-line block ×3, first 2 shown]
	v_add_f64 v[26:27], v[28:29], -v[34:35]
	s_waitcnt vmcnt(11)
	v_add_f64 v[10:11], v[10:11], -v[76:77]
	s_waitcnt vmcnt(7)
	v_add_f64 v[32:33], v[86:87], -v[90:91]
	v_mul_f64 v[16:17], v[72:73], v[16:17]
	s_waitcnt vmcnt(5)
	v_add_f64 v[34:35], v[92:93], -v[94:95]
	v_mul_f64 v[24:25], v[24:25], s[2:3]
	v_mul_f64 v[32:33], v[32:33], s[2:3]
	;; [unrolled: 1-line block ×3, first 2 shown]
	s_waitcnt vmcnt(1)
	v_add_f64 v[50:51], v[50:51], -v[52:53]
	v_mul_f64 v[52:53], v[54:55], v[68:69]
	v_fma_f64 v[6:7], v[6:7], s[6:7], -v[8:9]
	v_fma_f64 v[8:9], v[20:21], s[6:7], -v[18:19]
	v_add_f64 v[28:29], v[78:79], -v[84:85]
	v_add_f64 v[46:47], v[96:97], -v[46:47]
	v_mul_f64 v[22:23], v[72:73], v[22:23]
	v_mul_f64 v[10:11], v[10:11], s[2:3]
	;; [unrolled: 1-line block ×3, first 2 shown]
	v_fma_f64 v[18:19], v[26:27], s[6:7], -v[24:25]
	v_fma_f64 v[20:21], v[34:35], s[6:7], -v[32:33]
	v_mul_f64 v[32:33], v[16:17], v[8:9]
	v_mul_f64 v[8:9], v[62:63], v[8:9]
	;; [unrolled: 1-line block ×6, first 2 shown]
	v_fma_f64 v[10:11], v[28:29], s[6:7], -v[10:11]
	v_mul_f64 v[28:29], v[52:53], v[6:7]
	v_mul_f64 v[34:35], v[22:23], v[18:19]
	;; [unrolled: 1-line block ×7, first 2 shown]
	v_fma_f64 v[26:27], v[50:51], s[6:7], -v[46:47]
	v_mul_f64 v[28:29], v[0:1], v[28:29]
	v_mul_f64 v[18:19], v[0:1], v[18:19]
	;; [unrolled: 1-line block ×7, first 2 shown]
	v_fmac_f64_e32 v[32:33], v[108:109], v[28:29]
	v_mul_f64 v[18:19], v[108:109], v[18:19]
	v_fmac_f64_e32 v[8:9], v[60:61], v[6:7]
	v_mul_f64 v[30:31], v[64:65], v[68:69]
	v_mul_f64 v[22:23], v[22:23], v[26:27]
	;; [unrolled: 1-line block ×6, first 2 shown]
	v_fmac_f64_e32 v[32:33], v[108:109], v[34:35]
	v_fmac_f64_e32 v[18:19], v[108:109], v[50:51]
	;; [unrolled: 1-line block ×3, first 2 shown]
	v_mul_f64 v[30:31], v[30:31], v[72:73]
	v_fmac_f64_e32 v[32:33], v[58:59], v[44:45]
	v_fmac_f64_e32 v[18:19], v[58:59], v[16:17]
	;; [unrolled: 1-line block ×6, first 2 shown]
	s_waitcnt vmcnt(0)
	v_fmac_f64_e32 v[12:13], v[40:41], v[32:33]
	v_fmac_f64_e32 v[2:3], v[40:41], v[18:19]
	v_fmac_f64_e32 v[14:15], v[40:41], v[8:9]
	s_cbranch_scc0 .LBB0_10
; %bb.11:
	buffer_load_dword v6, off, s[52:55], 0 offset:296 ; 4-byte Folded Reload
	buffer_load_dword v7, off, s[52:55], 0 offset:300 ; 4-byte Folded Reload
	v_mov_b32_e32 v22, s19
	v_mul_f64 v[0:1], v[0:1], v[4:5]
	s_load_dwordx4 s[4:7], s[4:5], 0x30
	s_waitcnt lgkmcnt(0)
	v_mul_f64 v[12:13], v[12:13], s[6:7]
	v_mul_f64 v[2:3], v[2:3], s[6:7]
	s_waitcnt vmcnt(1)
	v_add_co_u32_e32 v6, vcc, s18, v6
	s_waitcnt vmcnt(0)
	v_addc_co_u32_e32 v7, vcc, v22, v7, vcc
	global_load_dwordx2 v[8:9], v[6:7], off
	buffer_load_dword v24, off, s[52:55], 0 offset:312 ; 4-byte Folded Reload
	buffer_load_dword v25, off, s[52:55], 0 offset:316 ; 4-byte Folded Reload
	buffer_load_dword v18, off, s[52:55], 0 ; 4-byte Folded Reload
	buffer_load_dword v19, off, s[52:55], 0 offset:4 ; 4-byte Folded Reload
	s_waitcnt vmcnt(2)
	v_div_scale_f64 v[4:5], s[0:1], v[24:25], v[24:25], v[0:1]
	v_rcp_f64_e32 v[16:17], v[4:5]
	v_div_scale_f64 v[10:11], vcc, v[0:1], v[24:25], v[0:1]
	s_waitcnt vmcnt(1)
	v_add_co_u32_e64 v18, s[0:1], s18, v18
	v_fma_f64 v[20:21], -v[4:5], v[16:17], 1.0
	v_fmac_f64_e32 v[16:17], v[16:17], v[20:21]
	v_fma_f64 v[20:21], -v[4:5], v[16:17], 1.0
	v_fmac_f64_e32 v[16:17], v[16:17], v[20:21]
	v_mul_f64 v[20:21], v[10:11], v[16:17]
	v_fma_f64 v[4:5], -v[4:5], v[20:21], v[10:11]
	v_div_fmas_f64 v[4:5], v[4:5], v[16:17], v[20:21]
	v_div_fixup_f64 v[0:1], v[4:5], v[24:25], v[0:1]
	v_mul_f64 v[4:5], v[8:9], s[4:5]
	v_fmac_f64_e32 v[4:5], v[0:1], v[12:13]
	s_waitcnt vmcnt(0)
	v_addc_co_u32_e64 v19, s[0:1], v22, v19, s[0:1]
	global_store_dwordx2 v[6:7], v[4:5], off
	global_load_dwordx2 v[4:5], v[18:19], off
	s_nop 0
	buffer_load_dword v6, off, s[52:55], 0 offset:304 ; 4-byte Folded Reload
	buffer_load_dword v7, off, s[52:55], 0 offset:308 ; 4-byte Folded Reload
	v_mul_f64 v[8:9], v[14:15], s[6:7]
	s_waitcnt vmcnt(2)
	v_mul_f64 v[4:5], v[4:5], s[4:5]
	s_waitcnt vmcnt(1)
	v_add_co_u32_e32 v6, vcc, s18, v6
	v_fmac_f64_e32 v[4:5], v[0:1], v[8:9]
	s_waitcnt vmcnt(0)
	v_addc_co_u32_e32 v7, vcc, v22, v7, vcc
	global_store_dwordx2 v[18:19], v[4:5], off
	global_load_dwordx2 v[4:5], v[6:7], off
	s_waitcnt vmcnt(0)
	v_mul_f64 v[4:5], v[4:5], s[4:5]
	v_fmac_f64_e32 v[4:5], v[0:1], v[2:3]
	global_store_dwordx2 v[6:7], v[4:5], off
.LBB0_12:
	s_endpgm
	.section	.rodata,"a",@progbits
	.p2align	6, 0x0
	.amdhsa_kernel _Z7kernel1iiiiiiiiiiiiddPKdS0_S0_S0_S0_PdS0_S0_S0_S0_S0_S0_S0_
		.amdhsa_group_segment_fixed_size 0
		.amdhsa_private_segment_fixed_size 896
		.amdhsa_kernarg_size 424
		.amdhsa_user_sgpr_count 6
		.amdhsa_user_sgpr_private_segment_buffer 1
		.amdhsa_user_sgpr_dispatch_ptr 0
		.amdhsa_user_sgpr_queue_ptr 0
		.amdhsa_user_sgpr_kernarg_segment_ptr 1
		.amdhsa_user_sgpr_dispatch_id 0
		.amdhsa_user_sgpr_flat_scratch_init 0
		.amdhsa_user_sgpr_kernarg_preload_length 0
		.amdhsa_user_sgpr_kernarg_preload_offset 0
		.amdhsa_user_sgpr_private_segment_size 0
		.amdhsa_uses_dynamic_stack 0
		.amdhsa_system_sgpr_private_segment_wavefront_offset 1
		.amdhsa_system_sgpr_workgroup_id_x 1
		.amdhsa_system_sgpr_workgroup_id_y 1
		.amdhsa_system_sgpr_workgroup_id_z 1
		.amdhsa_system_sgpr_workgroup_info 0
		.amdhsa_system_vgpr_workitem_id 2
		.amdhsa_next_free_vgpr 128
		.amdhsa_next_free_sgpr 56
		.amdhsa_accum_offset 128
		.amdhsa_reserve_vcc 1
		.amdhsa_reserve_flat_scratch 0
		.amdhsa_float_round_mode_32 0
		.amdhsa_float_round_mode_16_64 0
		.amdhsa_float_denorm_mode_32 3
		.amdhsa_float_denorm_mode_16_64 3
		.amdhsa_dx10_clamp 1
		.amdhsa_ieee_mode 1
		.amdhsa_fp16_overflow 0
		.amdhsa_tg_split 0
		.amdhsa_exception_fp_ieee_invalid_op 0
		.amdhsa_exception_fp_denorm_src 0
		.amdhsa_exception_fp_ieee_div_zero 0
		.amdhsa_exception_fp_ieee_overflow 0
		.amdhsa_exception_fp_ieee_underflow 0
		.amdhsa_exception_fp_ieee_inexact 0
		.amdhsa_exception_int_div_zero 0
	.end_amdhsa_kernel
	.text
.Lfunc_end0:
	.size	_Z7kernel1iiiiiiiiiiiiddPKdS0_S0_S0_S0_PdS0_S0_S0_S0_S0_S0_S0_, .Lfunc_end0-_Z7kernel1iiiiiiiiiiiiddPKdS0_S0_S0_S0_PdS0_S0_S0_S0_S0_S0_S0_
                                        ; -- End function
	.section	.AMDGPU.csdata,"",@progbits
; Kernel info:
; codeLenInByte = 18392
; NumSgprs: 60
; NumVgprs: 128
; NumAgprs: 0
; TotalNumVgprs: 128
; ScratchSize: 896
; MemoryBound: 0
; FloatMode: 240
; IeeeMode: 1
; LDSByteSize: 0 bytes/workgroup (compile time only)
; SGPRBlocks: 7
; VGPRBlocks: 15
; NumSGPRsForWavesPerEU: 60
; NumVGPRsForWavesPerEU: 128
; AccumOffset: 128
; Occupancy: 4
; WaveLimiterHint : 0
; COMPUTE_PGM_RSRC2:SCRATCH_EN: 1
; COMPUTE_PGM_RSRC2:USER_SGPR: 6
; COMPUTE_PGM_RSRC2:TRAP_HANDLER: 0
; COMPUTE_PGM_RSRC2:TGID_X_EN: 1
; COMPUTE_PGM_RSRC2:TGID_Y_EN: 1
; COMPUTE_PGM_RSRC2:TGID_Z_EN: 1
; COMPUTE_PGM_RSRC2:TIDIG_COMP_CNT: 2
; COMPUTE_PGM_RSRC3_GFX90A:ACCUM_OFFSET: 31
; COMPUTE_PGM_RSRC3_GFX90A:TG_SPLIT: 0
	.text
	.protected	_Z7kernel2iiiiiiiiiiiiddPKdS0_S0_S0_S0_PdS0_S0_S0_S0_S0_S0_S0_ ; -- Begin function _Z7kernel2iiiiiiiiiiiiddPKdS0_S0_S0_S0_PdS0_S0_S0_S0_S0_S0_S0_
	.globl	_Z7kernel2iiiiiiiiiiiiddPKdS0_S0_S0_S0_PdS0_S0_S0_S0_S0_S0_S0_
	.p2align	8
	.type	_Z7kernel2iiiiiiiiiiiiddPKdS0_S0_S0_S0_PdS0_S0_S0_S0_S0_S0_S0_,@function
_Z7kernel2iiiiiiiiiiiiddPKdS0_S0_S0_S0_PdS0_S0_S0_S0_S0_S0_S0_: ; @_Z7kernel2iiiiiiiiiiiiddPKdS0_S0_S0_S0_PdS0_S0_S0_S0_S0_S0_S0_
; %bb.0:
	s_mov_b64 s[30:31], s[2:3]
	s_mov_b64 s[28:29], s[0:1]
	s_load_dwordx2 s[0:1], s[4:5], 0xb4
	s_load_dwordx8 s[12:19], s[4:5], 0x0
	s_add_u32 s28, s28, s9
	s_addc_u32 s29, s29, 0
	v_and_b32_e32 v1, 0x3ff, v0
	s_waitcnt lgkmcnt(0)
	s_lshr_b32 s2, s0, 16
	s_and_b32 s0, s0, 0xffff
	s_mul_i32 s0, s6, s0
	s_add_i32 s0, s0, s12
	v_add_u32_e32 v13, s0, v1
	s_mul_i32 s0, s7, s2
	s_and_b32 s1, s1, 0xffff
	s_add_i32 s0, s0, s14
	v_bfe_u32 v1, v0, 10, 10
	v_add_u32_e32 v12, s0, v1
	s_mul_i32 s0, s8, s1
	s_add_i32 s0, s0, s16
	v_bfe_u32 v0, v0, 20, 10
	v_add_u32_e32 v52, s0, v0
	v_cmp_gt_i32_e32 vcc, s13, v13
	v_cmp_gt_i32_e64 s[0:1], s15, v12
	s_and_b64 s[0:1], vcc, s[0:1]
	v_cmp_gt_i32_e32 vcc, s17, v52
	s_and_b64 s[0:1], s[0:1], vcc
	s_and_saveexec_b64 s[2:3], s[0:1]
	s_cbranch_execz .LBB1_2
; %bb.1:
	s_load_dwordx4 s[20:23], s[4:5], 0x98
	s_load_dwordx4 s[0:3], s[4:5], 0x60
	s_load_dwordx8 s[8:15], s[4:5], 0x20
	v_subrev_u32_e32 v0, s18, v13
	v_ashrrev_i32_e32 v1, 31, v0
	s_sub_i32 s24, s19, s18
	v_lshlrev_b64 v[0:1], 3, v[0:1]
	s_not_b32 s6, s24
	s_waitcnt lgkmcnt(0)
	s_sub_i32 s7, s9, s8
	v_add_co_u32_e32 v2, vcc, s20, v0
	v_subrev_u32_e32 v0, s8, v12
	s_add_i32 s24, s24, 1
	s_mul_i32 s6, s6, s8
	s_add_i32 s8, s7, 1
	s_mul_i32 s8, s8, s24
	s_mul_i32 s7, s8, s10
	v_mov_b32_e32 v3, s21
	s_add_i32 s7, s7, s18
	v_addc_co_u32_e32 v3, vcc, v3, v1, vcc
	v_ashrrev_i32_e32 v1, 31, v0
	s_sub_i32 s7, s6, s7
	v_lshlrev_b64 v[0:1], 3, v[0:1]
	v_add_u32_e32 v53, s7, v13
	v_mul_lo_u32 v10, v12, s24
	v_mov_b32_e32 v4, s23
	v_add_co_u32_e32 v0, vcc, s22, v0
	v_add_u32_e32 v56, v10, v53
	v_mul_lo_u32 v118, v52, s8
	v_addc_co_u32_e32 v1, vcc, v4, v1, vcc
	v_add_u32_e32 v4, v56, v118
	v_ashrrev_i32_e32 v5, 31, v4
	v_lshlrev_b64 v[4:5], 3, v[4:5]
	v_mov_b32_e32 v7, s1
	v_add_co_u32_e32 v6, vcc, s0, v4
	v_addc_co_u32_e32 v7, vcc, v7, v5, vcc
	s_load_dwordx8 s[16:23], s[4:5], 0x40
	global_load_dwordx2 v[20:21], v[6:7], off
	v_add_u32_e32 v6, -2, v13
	v_add3_u32 v33, v118, v10, s7
	buffer_store_dword v6, off, s[28:31], 0 offset:344 ; 4-byte Folded Spill
	v_add_u32_e32 v6, v33, v6
	v_ashrrev_i32_e32 v7, 31, v6
	s_sub_i32 s0, s11, s10
	v_lshlrev_b64 v[8:9], 3, v[6:7]
	s_waitcnt lgkmcnt(0)
	v_mov_b32_e32 v58, s19
	s_add_i32 s6, s0, 1
	v_add_co_u32_e32 v6, vcc, s18, v8
	s_mul_i32 s6, s6, s8
	v_addc_co_u32_e32 v7, vcc, v58, v9, vcc
	v_mov_b32_e32 v57, s21
	s_sub_i32 s7, s7, s6
	v_add_co_u32_e32 v8, vcc, s20, v8
	s_ashr_i32 s1, s7, 31
	v_addc_co_u32_e32 v9, vcc, v57, v9, vcc
	v_ashrrev_i32_e32 v11, 31, v13
	v_mov_b32_e32 v24, s1
	v_add_co_u32_e32 v25, vcc, s7, v13
	v_addc_co_u32_e32 v11, vcc, v11, v24, vcc
	v_ashrrev_i32_e32 v14, 31, v10
	v_add_co_u32_e32 v24, vcc, v25, v10
	v_addc_co_u32_e32 v11, vcc, v11, v14, vcc
	v_ashrrev_i32_e32 v15, 31, v118
	v_add_co_u32_e32 v14, vcc, v24, v118
	s_ashr_i32 s0, s6, 31
	v_addc_co_u32_e32 v11, vcc, v11, v15, vcc
	v_mov_b32_e32 v15, s0
	v_add_co_u32_e32 v14, vcc, s6, v14
	v_addc_co_u32_e32 v15, vcc, v11, v15, vcc
	v_add_u32_e32 v11, -1, v13
	buffer_store_dword v11, off, s[28:31], 0 offset:352 ; 4-byte Folded Spill
	v_add_u32_e32 v26, v33, v11
	v_add_u32_e32 v11, 1, v13
	buffer_store_dword v11, off, s[28:31], 0 offset:368 ; 4-byte Folded Spill
	global_load_dwordx4 v[120:123], v[2:3], off
	global_load_dwordx4 v[74:77], v[2:3], off offset:-16
	global_load_dwordx4 v[114:117], v[0:1], off
	global_load_dwordx2 v[40:41], v[6:7], off
	global_load_dwordx2 v[62:63], v[8:9], off
	v_lshlrev_b64 v[24:25], 3, v[14:15]
	v_mov_b32_e32 v14, s23
	v_add_co_u32_e32 v24, vcc, s22, v24
	v_ashrrev_i32_e32 v27, 31, v26
	v_addc_co_u32_e32 v25, vcc, v14, v25, vcc
	v_lshlrev_b64 v[26:27], 3, v[26:27]
	v_add_co_u32_e32 v28, vcc, s18, v26
	v_addc_co_u32_e32 v29, vcc, v58, v27, vcc
	v_add_co_u32_e32 v26, vcc, s20, v26
	v_addc_co_u32_e32 v27, vcc, v57, v27, vcc
	v_add_co_u32_e32 v30, vcc, s18, v4
	v_add_u32_e32 v55, s7, v13
	v_addc_co_u32_e32 v31, vcc, v58, v5, vcc
	v_add_u32_e32 v34, v33, v11
	v_add_u32_e32 v59, v10, v55
	s_waitcnt vmcnt(0)
	buffer_store_dword v62, off, s[28:31], 0 offset:432 ; 4-byte Folded Spill
	s_nop 0
	buffer_store_dword v63, off, s[28:31], 0 offset:436 ; 4-byte Folded Spill
	global_load_dwordx2 v[42:43], v[28:29], off
	global_load_dwordx2 v[48:49], v[26:27], off
	v_add_co_u32_e32 v4, vcc, s20, v4
	v_ashrrev_i32_e32 v35, 31, v34
	v_add_u32_e32 v54, v59, v118
	v_addc_co_u32_e32 v5, vcc, v57, v5, vcc
	v_lshlrev_b64 v[36:37], 3, v[34:35]
	v_add_co_u32_e32 v38, vcc, s18, v36
	v_addc_co_u32_e32 v39, vcc, v58, v37, vcc
	v_mov_b32_e32 v15, s17
	s_lshl_b32 s9, s6, 1
	s_waitcnt vmcnt(0)
	buffer_store_dword v48, off, s[28:31], 0 offset:416 ; 4-byte Folded Spill
	s_nop 0
	buffer_store_dword v49, off, s[28:31], 0 offset:420 ; 4-byte Folded Spill
	global_load_dwordx2 v[34:35], v[30:31], off
	global_load_dwordx2 v[82:83], v[4:5], off
                                        ; kill: killed $vgpr28 killed $vgpr29
                                        ; kill: killed $vgpr8 killed $vgpr9
                                        ; kill: killed $vgpr6 killed $vgpr7
                                        ; kill: killed $vgpr4 killed $vgpr5
                                        ; kill: killed $vgpr30 killed $vgpr31
                                        ; kill: killed $vgpr26 killed $vgpr27
	global_load_dwordx4 v[16:19], v[24:25], off offset:-16
	v_add_u32_e32 v4, s6, v54
	v_ashrrev_i32_e32 v5, 31, v4
	v_lshlrev_b64 v[4:5], 3, v[4:5]
	v_add_co_u32_e64 v6, s[0:1], s22, v4
	v_addc_co_u32_e64 v7, s[0:1], v14, v5, s[0:1]
	v_pk_mov_b32 v[24:25], v[4:5], v[4:5] op_sel:[0,1]
	v_add_co_u32_e32 v4, vcc, s20, v36
	global_load_dwordx4 v[70:73], v[6:7], off
	v_addc_co_u32_e32 v5, vcc, v57, v37, vcc
	global_load_dwordx2 v[8:9], v[38:39], off
	global_load_dwordx2 v[22:23], v[4:5], off
	v_mul_f64 v[26:27], v[120:121], v[114:115]
	v_div_scale_f64 v[4:5], s[0:1], v[120:121], v[120:121], 1.0
	v_rcp_f64_e32 v[36:37], v[4:5]
	v_div_scale_f64 v[38:39], s[4:5], v[114:115], v[114:115], 1.0
	v_div_scale_f64 v[10:11], s[0:1], 1.0, v[120:121], 1.0
	s_waitcnt vmcnt(0)
	buffer_store_dword v22, off, s[28:31], 0 offset:376 ; 4-byte Folded Spill
	s_nop 0
	buffer_store_dword v23, off, s[28:31], 0 offset:380 ; 4-byte Folded Spill
	buffer_store_dword v26, off, s[28:31], 0 offset:208 ; 4-byte Folded Spill
	s_nop 0
	buffer_store_dword v27, off, s[28:31], 0 offset:212 ; 4-byte Folded Spill
	;; [unrolled: 3-line block ×3, first 2 shown]
	v_fma_f64 v[8:9], 2.0, v[8:9], v[22:23]
	v_div_scale_f64 v[28:29], s[4:5], v[20:21], v[20:21], v[26:27]
	v_rcp_f64_e32 v[30:31], v[28:29]
	v_div_scale_f64 v[44:45], vcc, v[26:27], v[20:21], v[26:27]
	s_mov_b32 s5, 0x3fe55555
	v_fma_f64 v[46:47], -v[28:29], v[30:31], 1.0
	v_fmac_f64_e32 v[30:31], v[30:31], v[46:47]
	v_fma_f64 v[46:47], -v[28:29], v[30:31], 1.0
	v_fmac_f64_e32 v[30:31], v[30:31], v[46:47]
	v_mul_f64 v[46:47], v[44:45], v[30:31]
	v_fma_f64 v[28:29], -v[28:29], v[46:47], v[44:45]
	v_rcp_f64_e32 v[44:45], v[38:39]
	v_div_fmas_f64 v[20:21], v[28:29], v[30:31], v[46:47]
	v_fma_f64 v[30:31], -v[4:5], v[36:37], 1.0
	v_fmac_f64_e32 v[36:37], v[36:37], v[30:31]
	v_fma_f64 v[30:31], -v[38:39], v[44:45], 1.0
	v_fmac_f64_e32 v[44:45], v[44:45], v[30:31]
	;; [unrolled: 2-line block ×3, first 2 shown]
	v_fma_f64 v[30:31], -v[38:39], v[44:45], 1.0
	v_div_scale_f64 v[28:29], vcc, 1.0, v[114:115], 1.0
	v_fmac_f64_e32 v[44:45], v[44:45], v[30:31]
	v_mul_f64 v[46:47], v[10:11], v[36:37]
	v_fma_f64 v[4:5], -v[4:5], v[46:47], v[10:11]
	v_mul_f64 v[10:11], v[28:29], v[44:45]
	v_fma_f64 v[28:29], -v[38:39], v[10:11], v[28:29]
	v_div_fmas_f64 v[10:11], v[28:29], v[44:45], v[10:11]
	buffer_store_dword v20, off, s[28:31], 0 offset:408 ; 4-byte Folded Spill
	s_nop 0
	buffer_store_dword v21, off, s[28:31], 0 offset:412 ; 4-byte Folded Spill
	buffer_store_dword v10, off, s[28:31], 0 offset:200 ; 4-byte Folded Spill
	s_nop 0
	buffer_store_dword v11, off, s[28:31], 0 offset:204 ; 4-byte Folded Spill
	buffer_store_dword v24, off, s[28:31], 0 ; 4-byte Folded Spill
	s_nop 0
	buffer_store_dword v25, off, s[28:31], 0 offset:4 ; 4-byte Folded Spill
	v_pk_mov_b32 v[20:21], v[70:71], v[70:71] op_sel:[0,1]
	v_pk_mov_b32 v[22:23], v[72:73], v[72:73] op_sel:[0,1]
	v_add_co_u32_e32 v50, vcc, s16, v24
	v_addc_co_u32_e32 v51, vcc, v15, v25, vcc
	s_mov_b64 vcc, s[0:1]
	global_load_dwordx4 v[28:31], v[50:51], off
	global_load_dwordx4 v[64:67], v[50:51], off offset:-16
	s_nop 0
	v_div_fmas_f64 v[60:61], v[4:5], v[36:37], v[46:47]
	v_fma_f64 v[4:5], 2.0, v[40:41], v[62:63]
	buffer_store_dword v4, off, s[28:31], 0 offset:456 ; 4-byte Folded Spill
	s_nop 0
	buffer_store_dword v5, off, s[28:31], 0 offset:460 ; 4-byte Folded Spill
	buffer_store_dword v16, off, s[28:31], 0 offset:664 ; 4-byte Folded Spill
	s_nop 0
	buffer_store_dword v17, off, s[28:31], 0 offset:668 ; 4-byte Folded Spill
	buffer_store_dword v18, off, s[28:31], 0 offset:672 ; 4-byte Folded Spill
	;; [unrolled: 1-line block ×3, first 2 shown]
	s_mov_b32 s1, 0x3fc55555
	s_mov_b32 s0, 0x55555555
	;; [unrolled: 1-line block ×3, first 2 shown]
	s_waitcnt vmcnt(7)
	v_add_f64 v[30:31], v[30:31], -v[28:29]
	v_mul_f64 v[4:5], v[4:5], v[16:17]
	v_mul_f64 v[36:37], v[16:17], v[4:5]
	v_fma_f64 v[4:5], 2.0, v[42:43], v[48:49]
	buffer_store_dword v4, off, s[28:31], 0 offset:464 ; 4-byte Folded Spill
	s_nop 0
	buffer_store_dword v5, off, s[28:31], 0 offset:468 ; 4-byte Folded Spill
	buffer_store_dword v74, off, s[28:31], 0 offset:440 ; 4-byte Folded Spill
	s_nop 0
	buffer_store_dword v75, off, s[28:31], 0 offset:444 ; 4-byte Folded Spill
	buffer_store_dword v76, off, s[28:31], 0 offset:448 ; 4-byte Folded Spill
	;; [unrolled: 1-line block ×4, first 2 shown]
	s_nop 0
	buffer_store_dword v9, off, s[28:31], 0 offset:364 ; 4-byte Folded Spill
	v_mul_f64 v[4:5], v[4:5], v[18:19]
	v_mul_f64 v[46:47], v[18:19], v[4:5]
	v_fma_f64 v[4:5], 2.0, v[34:35], v[82:83]
	v_mul_f64 v[10:11], v[4:5], v[70:71]
	v_mul_f64 v[8:9], v[8:9], v[72:73]
	;; [unrolled: 1-line block ×4, first 2 shown]
	v_add_u32_e32 v8, 2, v13
	v_mul_f64 v[10:11], v[120:121], v[10:11]
	v_mul_f64 v[38:39], v[76:77], v[46:47]
	buffer_store_dword v8, off, s[28:31], 0 offset:428 ; 4-byte Folded Spill
	v_add_u32_e32 v8, v33, v8
	v_fma_f64 v[40:41], v[74:75], v[36:37], v[10:11]
	v_pk_mov_b32 v[44:45], v[38:39], v[38:39] op_sel:[0,1]
	v_ashrrev_i32_e32 v9, 31, v8
	v_fmac_f64_e32 v[44:45], 0xbfe80000, v[40:41]
	v_mul_f64 v[40:41], v[122:123], v[42:43]
	v_lshlrev_b64 v[8:9], 3, v[8:9]
	v_fma_f64 v[68:69], v[74:75], v[36:37], v[40:41]
	v_add_co_u32_e32 v36, vcc, s18, v8
	v_addc_co_u32_e32 v37, vcc, v58, v9, vcc
	v_add_co_u32_e32 v8, vcc, s20, v8
	v_addc_co_u32_e32 v9, vcc, v57, v9, vcc
	global_load_dwordx2 v[48:49], v[36:37], off
	global_load_dwordx2 v[18:19], v[8:9], off
	s_waitcnt vmcnt(0)
	buffer_store_dword v18, off, s[28:31], 0 offset:576 ; 4-byte Folded Spill
	s_nop 0
	buffer_store_dword v19, off, s[28:31], 0 offset:580 ; 4-byte Folded Spill
	v_fma_f64 v[70:71], v[76:77], v[46:47], v[10:11]
	global_load_dwordx2 v[62:63], v[6:7], off offset:16
	global_load_dwordx2 v[16:17], v[2:3], off offset:16
	;; [unrolled: 1-line block ×3, first 2 shown]
	v_add_u32_e32 v2, -2, v12
	v_mul_lo_u32 v13, v2, s24
	v_add3_u32 v2, v118, v13, v53
	v_ashrrev_i32_e32 v3, 31, v2
	v_lshlrev_b64 v[2:3], 3, v[2:3]
	v_add_co_u32_e32 v2, vcc, s18, v2
	v_addc_co_u32_e32 v3, vcc, v58, v3, vcc
	global_load_dwordx2 v[72:73], v[2:3], off
	v_add_u32_e32 v7, s24, v13
	v_add3_u32 v6, v118, v7, v53
	v_add_u32_e32 v2, v13, v55
	buffer_store_dword v13, off, s[28:31], 0 offset:424 ; 4-byte Folded Spill
	v_mov_b32_e32 v12, v7
	v_ashrrev_i32_e32 v7, 31, v6
	s_waitcnt vmcnt(1)
	buffer_store_dword v72, off, s[28:31], 0 offset:60 ; 4-byte Folded Spill
	s_nop 0
	buffer_store_dword v73, off, s[28:31], 0 offset:64 ; 4-byte Folded Spill
	buffer_store_dword v2, off, s[28:31], 0 offset:128 ; 4-byte Folded Spill
	v_add_u32_e32 v2, v2, v118
	v_lshlrev_b64 v[6:7], 3, v[6:7]
	buffer_store_dword v2, off, s[28:31], 0 offset:44 ; 4-byte Folded Spill
	v_add_u32_e32 v2, s6, v2
	v_add_co_u32_e32 v8, vcc, s18, v6
	v_ashrrev_i32_e32 v3, 31, v2
	v_addc_co_u32_e32 v9, vcc, v58, v7, vcc
	v_lshlrev_b64 v[6:7], 3, v[2:3]
	v_add_co_u32_e32 v2, vcc, s22, v6
	v_addc_co_u32_e32 v3, vcc, v14, v7, vcc
	global_load_dwordx2 v[36:37], v[2:3], off
	global_load_dwordx2 v[26:27], v[8:9], off
	v_add_u32_e32 v2, v12, v55
	v_mov_b32_e32 v33, v12
	s_waitcnt vmcnt(0)
	buffer_store_dword v26, off, s[28:31], 0 offset:8 ; 4-byte Folded Spill
	s_nop 0
	buffer_store_dword v27, off, s[28:31], 0 offset:12 ; 4-byte Folded Spill
	buffer_store_dword v33, off, s[28:31], 0 offset:608 ; 4-byte Folded Spill
	;; [unrolled: 1-line block ×3, first 2 shown]
	v_add_u32_e32 v2, v2, v118
	buffer_store_dword v2, off, s[28:31], 0 offset:24 ; 4-byte Folded Spill
	v_add_u32_e32 v2, s6, v2
	v_ashrrev_i32_e32 v3, 31, v2
	v_lshlrev_b64 v[8:9], 3, v[2:3]
	v_add_co_u32_e32 v2, vcc, s22, v8
	v_addc_co_u32_e32 v3, vcc, v14, v9, vcc
	global_load_dwordx2 v[24:25], v[2:3], off
	v_fma_f64 v[12:13], 2.0, v[48:49], v[18:19]
	v_add_f64 v[50:51], v[64:65], -v[28:29]
	v_add_f64 v[2:3], v[66:67], -v[28:29]
	global_load_dwordx4 v[64:67], v[0:1], off offset:-16
	s_nop 0
	buffer_store_dword v12, off, s[28:31], 0 offset:568 ; 4-byte Folded Spill
	s_nop 0
	buffer_store_dword v13, off, s[28:31], 0 offset:572 ; 4-byte Folded Spill
	buffer_store_dword v62, off, s[28:31], 0 offset:584 ; 4-byte Folded Spill
	s_nop 0
	buffer_store_dword v63, off, s[28:31], 0 offset:588 ; 4-byte Folded Spill
	;; [unrolled: 3-line block ×4, first 2 shown]
	s_waitcnt vmcnt(9)
	buffer_store_dword v24, off, s[28:31], 0 offset:16 ; 4-byte Folded Spill
	s_nop 0
	buffer_store_dword v25, off, s[28:31], 0 offset:20 ; 4-byte Folded Spill
	buffer_store_dword v20, off, s[28:31], 0 offset:592 ; 4-byte Folded Spill
	s_nop 0
	buffer_store_dword v21, off, s[28:31], 0 offset:596 ; 4-byte Folded Spill
	buffer_store_dword v22, off, s[28:31], 0 offset:600 ; 4-byte Folded Spill
	;; [unrolled: 1-line block ×3, first 2 shown]
	v_fmac_f64_e32 v[68:69], 0x40080000, v[70:71]
	v_mul_f64 v[2:3], v[68:69], v[2:3]
	v_mul_f64 v[12:13], v[12:13], v[62:63]
	;; [unrolled: 1-line block ×3, first 2 shown]
	v_fmac_f64_e32 v[38:39], v[16:17], v[12:13]
	v_fma_f64 v[42:43], v[122:123], v[42:43], v[10:11]
	v_fmac_f64_e32 v[2:3], v[44:45], v[50:51]
	v_fmac_f64_e32 v[38:39], 0x40080000, v[42:43]
	;; [unrolled: 1-line block ×5, first 2 shown]
	v_add_f64 v[10:11], v[46:47], -v[28:29]
	v_fmac_f64_e32 v[2:3], v[40:41], v[10:11]
	v_lshl_add_u32 v11, s24, 1, v33
	v_add3_u32 v10, v118, v11, v53
	v_mov_b32_e32 v33, v11
	v_ashrrev_i32_e32 v11, 31, v10
	v_lshlrev_b64 v[10:11], 3, v[10:11]
	v_add_co_u32_e32 v30, vcc, s18, v10
	v_addc_co_u32_e32 v31, vcc, v58, v11, vcc
	v_mul_f64 v[10:11], v[72:73], v[36:37]
	v_mul_f64 v[36:37], v[36:37], v[10:11]
	v_add_u32_e32 v119, s24, v33
	v_mul_f64 v[2:3], v[2:3], s[0:1]
	v_mul_f64 v[10:11], v[26:27], v[24:25]
	;; [unrolled: 1-line block ×5, first 2 shown]
	v_pk_mov_b32 v[18:19], v[16:17], v[16:17] op_sel:[0,1]
	v_pk_mov_b32 v[20:21], v[36:37], v[36:37] op_sel:[0,1]
	buffer_store_dword v18, off, s[28:31], 0 offset:612 ; 4-byte Folded Spill
	s_nop 0
	buffer_store_dword v19, off, s[28:31], 0 offset:616 ; 4-byte Folded Spill
	buffer_store_dword v20, off, s[28:31], 0 offset:620 ; 4-byte Folded Spill
	s_nop 0
	buffer_store_dword v21, off, s[28:31], 0 offset:624 ; 4-byte Folded Spill
	global_load_dwordx2 v[26:27], v[30:31], off
	v_mul_f64 v[10:11], v[114:115], v[10:11]
	s_waitcnt vmcnt(19)
	v_mul_f64 v[12:13], v[66:67], v[16:17]
	v_fma_f64 v[24:25], v[64:65], v[36:37], v[10:11]
	v_pk_mov_b32 v[38:39], v[12:13], v[12:13] op_sel:[0,1]
	v_add_u32_e32 v16, v33, v55
	v_fmac_f64_e32 v[38:39], 0xbfe80000, v[24:25]
	v_add_u32_e32 v24, v16, v118
	s_waitcnt vmcnt(0)
	buffer_store_dword v26, off, s[28:31], 0 offset:28 ; 4-byte Folded Spill
	s_nop 0
	buffer_store_dword v27, off, s[28:31], 0 offset:32 ; 4-byte Folded Spill
	buffer_store_dword v33, off, s[28:31], 0 offset:636 ; 4-byte Folded Spill
	;; [unrolled: 1-line block ×3, first 2 shown]
	v_add_u32_e32 v24, s6, v24
	v_ashrrev_i32_e32 v25, 31, v24
	v_lshlrev_b64 v[24:25], 3, v[24:25]
	v_add_co_u32_e32 v30, vcc, s22, v24
	v_addc_co_u32_e32 v31, vcc, v14, v25, vcc
	global_load_dwordx2 v[36:37], v[30:31], off
	v_add_co_u32_e32 v6, vcc, s16, v6
	buffer_store_dword v16, off, s[28:31], 0 offset:184 ; 4-byte Folded Spill
	s_waitcnt vmcnt(1)
	buffer_store_dword v36, off, s[28:31], 0 offset:36 ; 4-byte Folded Spill
	s_nop 0
	buffer_store_dword v37, off, s[28:31], 0 offset:40 ; 4-byte Folded Spill
	v_addc_co_u32_e32 v7, vcc, v15, v7, vcc
	v_add_co_u32_e32 v8, vcc, s16, v8
	v_addc_co_u32_e32 v9, vcc, v15, v9, vcc
	v_add_u32_e32 v16, v119, v55
	v_mul_f64 v[30:31], v[26:27], v[36:37]
	v_mul_f64 v[22:23], v[36:37], v[30:31]
	;; [unrolled: 1-line block ×3, first 2 shown]
	buffer_store_dword v22, off, s[28:31], 0 offset:628 ; 4-byte Folded Spill
	s_nop 0
	buffer_store_dword v23, off, s[28:31], 0 offset:632 ; 4-byte Folded Spill
	buffer_store_dword v64, off, s[28:31], 0 offset:68 ; 4-byte Folded Spill
	s_nop 0
	buffer_store_dword v65, off, s[28:31], 0 offset:72 ; 4-byte Folded Spill
	buffer_store_dword v66, off, s[28:31], 0 offset:76 ; 4-byte Folded Spill
	;; [unrolled: 1-line block ×3, first 2 shown]
	global_load_dwordx2 v[8:9], v[8:9], off
	v_fma_f64 v[40:41], v[64:65], v[20:21], v[30:31]
	global_load_dwordx2 v[6:7], v[6:7], off
	v_fma_f64 v[42:43], v[66:67], v[18:19], v[10:11]
	v_fmac_f64_e32 v[40:41], 0x40080000, v[42:43]
	s_waitcnt vmcnt(1)
	v_add_f64 v[8:9], v[8:9], -v[28:29]
	v_mul_f64 v[64:65], v[40:41], v[8:9]
	v_add3_u32 v8, v118, v119, v53
	v_ashrrev_i32_e32 v9, 31, v8
	v_lshlrev_b64 v[8:9], 3, v[8:9]
	buffer_store_dword v16, off, s[28:31], 0 offset:188 ; 4-byte Folded Spill
	v_add_u32_e32 v16, v16, v118
	buffer_store_dword v16, off, s[28:31], 0 offset:156 ; 4-byte Folded Spill
	s_waitcnt vmcnt(2)
	v_add_f64 v[6:7], v[6:7], -v[28:29]
	v_fmac_f64_e32 v[64:65], v[38:39], v[6:7]
	v_add_co_u32_e32 v6, vcc, s16, v24
	v_addc_co_u32_e32 v7, vcc, v15, v25, vcc
	v_add_co_u32_e32 v8, vcc, s18, v8
	v_addc_co_u32_e32 v9, vcc, v58, v9, vcc
	v_add_u32_e32 v24, s6, v16
	global_load_dwordx2 v[16:17], v[8:9], off
	v_ashrrev_i32_e32 v25, 31, v24
	v_lshlrev_b64 v[24:25], 3, v[24:25]
	v_add_co_u32_e32 v38, vcc, s22, v24
	v_addc_co_u32_e32 v39, vcc, v14, v25, vcc
	s_waitcnt vmcnt(0)
	buffer_store_dword v16, off, s[28:31], 0 offset:148 ; 4-byte Folded Spill
	s_nop 0
	buffer_store_dword v17, off, s[28:31], 0 offset:152 ; 4-byte Folded Spill
	global_load_dwordx2 v[8:9], v[38:39], off
	s_waitcnt vmcnt(0)
	buffer_store_dword v8, off, s[28:31], 0 offset:140 ; 4-byte Folded Spill
	s_nop 0
	buffer_store_dword v9, off, s[28:31], 0 offset:144 ; 4-byte Folded Spill
	global_load_dwordx2 v[18:19], v[0:1], off offset:16
	v_mul_f64 v[0:1], v[16:17], v[8:9]
	v_mul_f64 v[0:1], v[8:9], v[0:1]
	v_pk_mov_b32 v[8:9], v[0:1], v[0:1] op_sel:[0,1]
	s_waitcnt vmcnt(0)
	v_fmac_f64_e32 v[12:13], v[18:19], v[0:1]
	buffer_store_dword v8, off, s[28:31], 0 offset:648 ; 4-byte Folded Spill
	s_nop 0
	buffer_store_dword v9, off, s[28:31], 0 offset:652 ; 4-byte Folded Spill
	buffer_store_dword v18, off, s[28:31], 0 offset:160 ; 4-byte Folded Spill
	s_nop 0
	buffer_store_dword v19, off, s[28:31], 0 offset:164 ; 4-byte Folded Spill
	v_fma_f64 v[0:1], v[116:117], v[22:23], v[10:11]
	v_fmac_f64_e32 v[12:13], 0x40080000, v[0:1]
	global_load_dwordx2 v[0:1], v[6:7], off
	v_fmac_f64_e32 v[10:11], v[18:19], v[8:9]
	v_fmac_f64_e32 v[30:31], 0xbfe80000, v[10:11]
	s_waitcnt vmcnt(0)
	v_add_f64 v[0:1], v[0:1], -v[28:29]
	v_fmac_f64_e32 v[64:65], v[12:13], v[0:1]
	v_add_co_u32_e32 v0, vcc, s16, v24
	v_addc_co_u32_e32 v1, vcc, v15, v25, vcc
	global_load_dwordx2 v[0:1], v[0:1], off
	s_waitcnt vmcnt(0)
	v_add_f64 v[0:1], v[0:1], -v[28:29]
	v_fmac_f64_e32 v[64:65], v[30:31], v[0:1]
	v_add_u32_e32 v0, -2, v52
	v_mul_lo_u32 v1, v0, s8
	v_add_u32_e32 v0, v1, v56
	v_mov_b32_e32 v7, v1
	v_ashrrev_i32_e32 v1, 31, v0
	v_add_u32_e32 v6, v7, v59
	v_lshlrev_b64 v[0:1], 3, v[0:1]
	v_add_u32_e32 v10, s9, v6
	v_add_co_u32_e32 v8, vcc, s18, v0
	v_add_u32_e32 v12, s6, v10
	v_addc_co_u32_e32 v9, vcc, v58, v1, vcc
	v_add_u32_e32 v24, s6, v12
	v_add_co_u32_e32 v0, vcc, s20, v0
	v_ashrrev_i32_e32 v25, 31, v24
	v_addc_co_u32_e32 v1, vcc, v57, v1, vcc
	v_lshlrev_b64 v[24:25], 3, v[24:25]
	v_add_co_u32_e32 v24, vcc, s22, v24
	v_ashrrev_i32_e32 v11, 31, v10
	buffer_store_dword v7, off, s[28:31], 0 offset:196 ; 4-byte Folded Spill
	v_addc_co_u32_e32 v25, vcc, v14, v25, vcc
	v_lshlrev_b64 v[70:71], 3, v[10:11]
	global_load_dwordx2 v[16:17], v[8:9], off
	s_nop 0
	global_load_dwordx2 v[8:9], v[0:1], off
	v_add_co_u32_e32 v0, vcc, s22, v70
	v_addc_co_u32_e32 v1, vcc, v14, v71, vcc
	global_load_dwordx2 v[10:11], v[0:1], off
	v_ashrrev_i32_e32 v13, 31, v12
	v_lshlrev_b64 v[84:85], 3, v[12:13]
	v_add_co_u32_e32 v0, vcc, s22, v84
	v_addc_co_u32_e32 v1, vcc, v14, v85, vcc
	global_load_dwordx2 v[12:13], v[0:1], off
	global_load_dwordx2 v[46:47], v[24:25], off
	v_add_u32_e32 v7, s8, v7
	s_waitcnt vmcnt(4)
	v_pk_mov_b32 v[104:105], v[16:17], v[16:17] op_sel:[0,1]
	s_waitcnt vmcnt(3)
	v_fma_f64 v[0:1], 2.0, v[16:17], v[8:9]
	v_pk_mov_b32 v[26:27], v[8:9], v[8:9] op_sel:[0,1]
	buffer_store_dword v26, off, s[28:31], 0 offset:120 ; 4-byte Folded Spill
	s_nop 0
	buffer_store_dword v27, off, s[28:31], 0 offset:124 ; 4-byte Folded Spill
	s_waitcnt vmcnt(4)
	v_mul_f64 v[0:1], v[0:1], v[10:11]
	buffer_store_dword v0, off, s[28:31], 0 offset:640 ; 4-byte Folded Spill
	s_nop 0
	buffer_store_dword v1, off, s[28:31], 0 offset:644 ; 4-byte Folded Spill
	v_pk_mov_b32 v[36:37], v[10:11], v[10:11] op_sel:[0,1]
	buffer_store_dword v36, off, s[28:31], 0 offset:132 ; 4-byte Folded Spill
	s_nop 0
	buffer_store_dword v37, off, s[28:31], 0 offset:136 ; 4-byte Folded Spill
	buffer_store_dword v104, off, s[28:31], 0 offset:256 ; 4-byte Folded Spill
	s_nop 0
	buffer_store_dword v105, off, s[28:31], 0 offset:260 ; 4-byte Folded Spill
	s_waitcnt vmcnt(9)
	v_pk_mov_b32 v[40:41], v[12:13], v[12:13] op_sel:[0,1]
	v_mul_f64 v[0:1], v[120:121], v[0:1]
	v_mul_f64 v[8:9], v[10:11], v[0:1]
	;; [unrolled: 1-line block ×5, first 2 shown]
	s_waitcnt vmcnt(8)
	v_fmac_f64_e32 v[0:1], v[46:47], v[46:47]
	v_mul_f64 v[0:1], v[16:17], v[0:1]
	v_fmac_f64_e32 v[0:1], v[120:121], v[8:9]
	v_add_u32_e32 v8, v7, v56
	v_mov_b32_e32 v12, v7
	v_ashrrev_i32_e32 v9, 31, v8
	v_add_u32_e32 v7, v12, v59
	v_lshlrev_b64 v[8:9], 3, v[8:9]
	v_mov_b32_e32 v16, v12
	v_add_u32_e32 v12, s9, v7
	v_add_co_u32_e32 v10, vcc, s18, v8
	v_add_u32_e32 v24, s6, v12
	v_addc_co_u32_e32 v11, vcc, v58, v9, vcc
	v_add_u32_e32 v30, s6, v24
	v_add_co_u32_e32 v8, vcc, s20, v8
	v_ashrrev_i32_e32 v31, 31, v30
	v_addc_co_u32_e32 v9, vcc, v57, v9, vcc
	v_lshlrev_b64 v[30:31], 3, v[30:31]
	v_add_co_u32_e32 v30, vcc, s22, v30
	v_ashrrev_i32_e32 v13, 31, v12
	buffer_store_dword v16, off, s[28:31], 0 offset:192 ; 4-byte Folded Spill
	v_addc_co_u32_e32 v31, vcc, v14, v31, vcc
	v_lshlrev_b64 v[72:73], 3, v[12:13]
	global_load_dwordx2 v[38:39], v[10:11], off
	global_load_dwordx2 v[22:23], v[8:9], off
	v_add_co_u32_e32 v8, vcc, s22, v72
	v_addc_co_u32_e32 v9, vcc, v14, v73, vcc
	global_load_dwordx2 v[12:13], v[8:9], off
	v_ashrrev_i32_e32 v25, 31, v24
	v_lshlrev_b64 v[86:87], 3, v[24:25]
	v_add_co_u32_e32 v8, vcc, s22, v86
	v_addc_co_u32_e32 v9, vcc, v14, v87, vcc
	global_load_dwordx2 v[42:43], v[8:9], off
	global_load_dwordx2 v[106:107], v[30:31], off
	s_waitcnt vmcnt(4)
	v_pk_mov_b32 v[24:25], v[38:39], v[38:39] op_sel:[0,1]
	s_waitcnt vmcnt(3)
	v_fma_f64 v[8:9], 2.0, v[24:25], v[22:23]
	buffer_store_dword v22, off, s[28:31], 0 offset:84 ; 4-byte Folded Spill
	s_nop 0
	buffer_store_dword v23, off, s[28:31], 0 offset:88 ; 4-byte Folded Spill
	v_pk_mov_b32 v[112:113], v[24:25], v[24:25] op_sel:[0,1]
	s_waitcnt vmcnt(4)
	v_mul_f64 v[8:9], v[8:9], v[12:13]
	buffer_store_dword v8, off, s[28:31], 0 offset:656 ; 4-byte Folded Spill
	s_nop 0
	buffer_store_dword v9, off, s[28:31], 0 offset:660 ; 4-byte Folded Spill
	v_pk_mov_b32 v[98:99], v[12:13], v[12:13] op_sel:[0,1]
	buffer_store_dword v98, off, s[28:31], 0 offset:92 ; 4-byte Folded Spill
	s_nop 0
	buffer_store_dword v99, off, s[28:31], 0 offset:96 ; 4-byte Folded Spill
	buffer_store_dword v112, off, s[28:31], 0 offset:224 ; 4-byte Folded Spill
	s_nop 0
	buffer_store_dword v113, off, s[28:31], 0 offset:228 ; 4-byte Folded Spill
	s_waitcnt vmcnt(9)
	v_mul_f64 v[10:11], v[114:115], v[42:43]
	v_mul_f64 v[10:11], v[42:43], v[10:11]
	;; [unrolled: 1-line block ×3, first 2 shown]
	s_waitcnt vmcnt(8)
	v_fmac_f64_e32 v[10:11], v[106:107], v[106:107]
	v_mul_f64 v[38:39], v[24:25], v[10:11]
	v_pk_mov_b32 v[108:109], v[42:43], v[42:43] op_sel:[0,1]
	v_mul_f64 v[8:9], v[120:121], v[8:9]
	v_mul_f64 v[8:9], v[12:13], v[8:9]
	v_fmac_f64_e32 v[38:39], v[120:121], v[8:9]
	v_add_u32_e32 v8, s9, v54
	v_add_u32_e32 v10, s6, v8
	v_add_u32_e32 v12, s6, v10
	v_ashrrev_i32_e32 v13, 31, v12
	v_lshlrev_b64 v[12:13], 3, v[12:13]
	v_add_co_u32_e32 v12, vcc, s22, v12
	v_ashrrev_i32_e32 v9, 31, v8
	v_addc_co_u32_e32 v13, vcc, v14, v13, vcc
	v_lshlrev_b64 v[74:75], 3, v[8:9]
	v_add_co_u32_e32 v124, vcc, s22, v74
	buffer_store_dword v12, off, s[28:31], 0 offset:384 ; 4-byte Folded Spill
	s_nop 0
	buffer_store_dword v13, off, s[28:31], 0 offset:388 ; 4-byte Folded Spill
	v_addc_co_u32_e32 v125, vcc, v14, v75, vcc
	global_load_dwordx4 v[78:81], v[124:125], off
	v_ashrrev_i32_e32 v11, 31, v10
	v_lshlrev_b64 v[88:89], 3, v[10:11]
	v_add_co_u32_e32 v8, vcc, s22, v88
	v_addc_co_u32_e32 v9, vcc, v14, v89, vcc
	s_waitcnt vmcnt(0)
	v_mul_f64 v[4:5], v[4:5], v[78:79]
	v_mul_f64 v[4:5], v[120:121], v[4:5]
	;; [unrolled: 1-line block ×3, first 2 shown]
	buffer_store_dword v78, off, s[28:31], 0 offset:808 ; 4-byte Folded Spill
	s_nop 0
	buffer_store_dword v79, off, s[28:31], 0 offset:812 ; 4-byte Folded Spill
	buffer_store_dword v80, off, s[28:31], 0 offset:816 ; 4-byte Folded Spill
	;; [unrolled: 1-line block ×4, first 2 shown]
	s_nop 0
	buffer_store_dword v9, off, s[28:31], 0 offset:828 ; 4-byte Folded Spill
	global_load_dwordx4 v[18:21], v[8:9], off
	v_lshl_add_u32 v8, s8, 1, v16
	s_waitcnt vmcnt(0)
	v_mul_f64 v[10:11], v[114:115], v[18:19]
	v_mul_f64 v[10:11], v[18:19], v[10:11]
	buffer_store_dword v18, off, s[28:31], 0 offset:760 ; 4-byte Folded Spill
	s_nop 0
	buffer_store_dword v19, off, s[28:31], 0 offset:764 ; 4-byte Folded Spill
	buffer_store_dword v20, off, s[28:31], 0 offset:768 ; 4-byte Folded Spill
	;; [unrolled: 1-line block ×3, first 2 shown]
	global_load_dwordx4 v[30:33], v[12:13], off
	v_mul_f64 v[10:11], v[114:115], v[10:11]
	v_add_u32_e32 v12, v8, v59
	v_add_u32_e32 v48, s9, v12
	;; [unrolled: 1-line block ×4, first 2 shown]
	v_ashrrev_i32_e32 v53, 31, v52
	v_lshlrev_b64 v[52:53], 3, v[52:53]
	v_ashrrev_i32_e32 v49, 31, v48
	v_lshlrev_b64 v[76:77], 3, v[48:49]
	;; [unrolled: 2-line block ×3, first 2 shown]
	s_waitcnt vmcnt(0)
	v_fmac_f64_e32 v[10:11], v[30:31], v[30:31]
	v_mul_f64 v[24:25], v[34:35], v[10:11]
	v_fmac_f64_e32 v[24:25], v[120:121], v[4:5]
	v_add_u32_e32 v4, v8, v56
	v_ashrrev_i32_e32 v5, 31, v4
	v_lshlrev_b64 v[4:5], 3, v[4:5]
	v_add_co_u32_e32 v10, vcc, s18, v4
	v_addc_co_u32_e32 v11, vcc, v58, v5, vcc
	v_add_co_u32_e32 v4, vcc, s20, v4
	v_addc_co_u32_e32 v5, vcc, v57, v5, vcc
	v_add_co_u32_e32 v52, vcc, s22, v52
	buffer_store_dword v30, off, s[28:31], 0 offset:328 ; 4-byte Folded Spill
	s_nop 0
	buffer_store_dword v31, off, s[28:31], 0 offset:332 ; 4-byte Folded Spill
	buffer_store_dword v32, off, s[28:31], 0 offset:336 ; 4-byte Folded Spill
	;; [unrolled: 1-line block ×4, first 2 shown]
	v_addc_co_u32_e32 v53, vcc, v14, v53, vcc
	global_load_dwordx2 v[16:17], v[10:11], off
	s_nop 0
	global_load_dwordx2 v[10:11], v[4:5], off
	v_add_co_u32_e32 v4, vcc, s22, v76
	v_addc_co_u32_e32 v5, vcc, v14, v77, vcc
	global_load_dwordx2 v[48:49], v[4:5], off
	v_add_co_u32_e32 v4, vcc, s22, v90
	v_addc_co_u32_e32 v5, vcc, v14, v91, vcc
	global_load_dwordx2 v[50:51], v[4:5], off
	global_load_dwordx2 v[42:43], v[52:53], off
	s_waitcnt vmcnt(3)
	v_fma_f64 v[4:5], 2.0, v[16:17], v[10:11]
	v_pk_mov_b32 v[100:101], v[10:11], v[10:11] op_sel:[0,1]
	buffer_store_dword v100, off, s[28:31], 0 offset:104 ; 4-byte Folded Spill
	s_nop 0
	buffer_store_dword v101, off, s[28:31], 0 offset:108 ; 4-byte Folded Spill
	s_waitcnt vmcnt(4)
	v_mul_f64 v[4:5], v[4:5], v[48:49]
	buffer_store_dword v4, off, s[28:31], 0 offset:680 ; 4-byte Folded Spill
	s_nop 0
	buffer_store_dword v5, off, s[28:31], 0 offset:684 ; 4-byte Folded Spill
	v_pk_mov_b32 v[102:103], v[48:49], v[48:49] op_sel:[0,1]
	buffer_store_dword v102, off, s[28:31], 0 offset:112 ; 4-byte Folded Spill
	s_nop 0
	buffer_store_dword v103, off, s[28:31], 0 offset:116 ; 4-byte Folded Spill
	s_waitcnt vmcnt(7)
	v_mul_f64 v[10:11], v[114:115], v[50:51]
	v_mul_f64 v[10:11], v[50:51], v[10:11]
	;; [unrolled: 1-line block ×3, first 2 shown]
	s_waitcnt vmcnt(6)
	v_fmac_f64_e32 v[10:11], v[42:43], v[42:43]
	v_mul_f64 v[92:93], v[16:17], v[10:11]
	v_pk_mov_b32 v[10:11], v[38:39], v[38:39] op_sel:[0,1]
	buffer_store_dword v16, off, s[28:31], 0 offset:240 ; 4-byte Folded Spill
	s_nop 0
	buffer_store_dword v17, off, s[28:31], 0 offset:244 ; 4-byte Folded Spill
	v_pk_mov_b32 v[126:127], v[42:43], v[42:43] op_sel:[0,1]
	v_mul_f64 v[4:5], v[120:121], v[4:5]
	v_mul_f64 v[4:5], v[48:49], v[4:5]
	v_fmac_f64_e32 v[92:93], v[120:121], v[4:5]
	v_add_f64 v[4:5], v[0:1], v[24:25]
	v_fmac_f64_e32 v[10:11], 0xbfe80000, v[4:5]
	v_add_f64 v[0:1], v[0:1], v[92:93]
	v_add_f64 v[4:5], v[38:39], v[24:25]
	v_fmac_f64_e32 v[0:1], 0x40080000, v[4:5]
	v_add_u32_e32 v4, s6, v7
	v_ashrrev_i32_e32 v5, 31, v4
	v_lshlrev_b64 v[4:5], 3, v[4:5]
	buffer_store_dword v4, off, s[28:31], 0 offset:704 ; 4-byte Folded Spill
	s_nop 0
	buffer_store_dword v5, off, s[28:31], 0 offset:708 ; 4-byte Folded Spill
	v_add_co_u32_e32 v110, vcc, s16, v4
	v_addc_co_u32_e32 v111, vcc, v15, v5, vcc
	global_load_dwordx4 v[42:45], v[110:111], off
	s_waitcnt vmcnt(0)
	buffer_store_dword v42, off, s[28:31], 0 offset:688 ; 4-byte Folded Spill
	s_nop 0
	buffer_store_dword v43, off, s[28:31], 0 offset:692 ; 4-byte Folded Spill
	buffer_store_dword v44, off, s[28:31], 0 offset:696 ; 4-byte Folded Spill
	;; [unrolled: 1-line block ×3, first 2 shown]
	v_add_f64 v[4:5], v[42:43], -v[28:29]
	v_mul_f64 v[0:1], v[0:1], v[4:5]
	v_add_u32_e32 v4, s6, v6
	v_ashrrev_i32_e32 v5, 31, v4
	v_lshlrev_b64 v[4:5], 3, v[4:5]
	buffer_store_dword v4, off, s[28:31], 0 offset:728 ; 4-byte Folded Spill
	s_nop 0
	buffer_store_dword v5, off, s[28:31], 0 offset:732 ; 4-byte Folded Spill
	v_add_co_u32_e32 v62, vcc, s16, v4
	v_addc_co_u32_e32 v63, vcc, v15, v5, vcc
	global_load_dwordx4 v[4:7], v[62:63], off
	s_waitcnt vmcnt(0)
	buffer_store_dword v4, off, s[28:31], 0 offset:712 ; 4-byte Folded Spill
	s_nop 0
	buffer_store_dword v5, off, s[28:31], 0 offset:716 ; 4-byte Folded Spill
	buffer_store_dword v6, off, s[28:31], 0 offset:720 ; 4-byte Folded Spill
	;; [unrolled: 1-line block ×3, first 2 shown]
	v_add_u32_e32 v6, s8, v8
	v_add_u32_e32 v13, v6, v59
	;; [unrolled: 1-line block ×4, first 2 shown]
	v_ashrrev_i32_e32 v49, 31, v48
	buffer_store_dword v6, off, s[28:31], 0 offset:220 ; 4-byte Folded Spill
	v_lshlrev_b64 v[94:95], 3, v[48:49]
	v_ashrrev_i32_e32 v53, 31, v52
	v_lshlrev_b64 v[96:97], 3, v[52:53]
	v_add_f64 v[4:5], v[4:5], -v[28:29]
	v_fmac_f64_e32 v[0:1], v[10:11], v[4:5]
	v_add_u32_e32 v4, v6, v56
	v_ashrrev_i32_e32 v5, 31, v4
	v_lshlrev_b64 v[4:5], 3, v[4:5]
	v_add_co_u32_e32 v10, vcc, s18, v4
	v_addc_co_u32_e32 v11, vcc, v58, v5, vcc
	v_add_co_u32_e32 v4, vcc, s20, v4
	v_add_u32_e32 v56, s6, v52
	v_addc_co_u32_e32 v5, vcc, v57, v5, vcc
	v_ashrrev_i32_e32 v57, 31, v56
	v_lshlrev_b64 v[56:57], 3, v[56:57]
	v_add_co_u32_e32 v56, vcc, s22, v56
	v_addc_co_u32_e32 v57, vcc, v14, v57, vcc
	global_load_dwordx2 v[10:11], v[10:11], off
	s_nop 0
	global_load_dwordx2 v[6:7], v[4:5], off
	v_add_co_u32_e32 v4, vcc, s22, v94
	v_addc_co_u32_e32 v5, vcc, v14, v95, vcc
	global_load_dwordx2 v[8:9], v[4:5], off
	v_add_co_u32_e32 v4, vcc, s22, v96
	v_addc_co_u32_e32 v5, vcc, v14, v97, vcc
	global_load_dwordx2 v[42:43], v[4:5], off
	global_load_dwordx2 v[48:49], v[56:57], off
	s_waitcnt vmcnt(3)
	v_fma_f64 v[4:5], 2.0, v[10:11], v[6:7]
	buffer_store_dword v6, off, s[28:31], 0 offset:168 ; 4-byte Folded Spill
	s_nop 0
	buffer_store_dword v7, off, s[28:31], 0 offset:172 ; 4-byte Folded Spill
	s_waitcnt vmcnt(4)
	v_mul_f64 v[4:5], v[4:5], v[8:9]
	buffer_store_dword v4, off, s[28:31], 0 offset:736 ; 4-byte Folded Spill
	s_nop 0
	buffer_store_dword v5, off, s[28:31], 0 offset:740 ; 4-byte Folded Spill
	s_waitcnt vmcnt(5)
	v_mul_f64 v[52:53], v[114:115], v[42:43]
	v_mul_f64 v[52:53], v[42:43], v[52:53]
	;; [unrolled: 1-line block ×3, first 2 shown]
	s_waitcnt vmcnt(4)
	v_fmac_f64_e32 v[52:53], v[48:49], v[48:49]
	v_mul_f64 v[66:67], v[10:11], v[52:53]
	v_mul_f64 v[4:5], v[120:121], v[4:5]
	;; [unrolled: 1-line block ×3, first 2 shown]
	v_fmac_f64_e32 v[66:67], v[120:121], v[4:5]
	v_add_f64 v[38:39], v[38:39], v[66:67]
	v_add_f64 v[4:5], v[24:25], v[92:93]
	v_fmac_f64_e32 v[38:39], 0x40080000, v[4:5]
	v_add_u32_e32 v4, s6, v12
	v_ashrrev_i32_e32 v5, 31, v4
	v_lshlrev_b64 v[4:5], 3, v[4:5]
	buffer_store_dword v8, off, s[28:31], 0 offset:176 ; 4-byte Folded Spill
	s_nop 0
	buffer_store_dword v9, off, s[28:31], 0 offset:180 ; 4-byte Folded Spill
	buffer_store_dword v10, off, s[28:31], 0 offset:296 ; 4-byte Folded Spill
	s_nop 0
	buffer_store_dword v11, off, s[28:31], 0 offset:300 ; 4-byte Folded Spill
	;; [unrolled: 3-line block ×3, first 2 shown]
	v_add_f64 v[24:25], v[24:25], v[66:67]
	v_fmac_f64_e32 v[92:93], 0xbfe80000, v[24:25]
	v_add_u32_e32 v24, s6, v13
	v_ashrrev_i32_e32 v25, 31, v24
	v_add_co_u32_e32 v54, vcc, s16, v4
	v_addc_co_u32_e32 v55, vcc, v15, v5, vcc
	global_load_dwordx4 v[56:59], v[54:55], off
	v_lshlrev_b64 v[4:5], 3, v[24:25]
	s_waitcnt vmcnt(0)
	buffer_store_dword v56, off, s[28:31], 0 offset:744 ; 4-byte Folded Spill
	s_nop 0
	buffer_store_dword v57, off, s[28:31], 0 offset:748 ; 4-byte Folded Spill
	buffer_store_dword v58, off, s[28:31], 0 offset:752 ; 4-byte Folded Spill
	;; [unrolled: 1-line block ×4, first 2 shown]
	s_nop 0
	buffer_store_dword v5, off, s[28:31], 0 offset:804 ; 4-byte Folded Spill
	v_add_f64 v[56:57], v[56:57], -v[28:29]
	v_fmac_f64_e32 v[0:1], v[56:57], v[38:39]
	v_add_co_u32_e32 v24, vcc, s16, v4
	v_addc_co_u32_e32 v25, vcc, v15, v5, vcc
	global_load_dwordx4 v[66:69], v[24:25], off
	buffer_load_dword v4, off, s[28:31], 0 offset:200 ; 4-byte Folded Reload
	buffer_load_dword v5, off, s[28:31], 0 offset:204 ; 4-byte Folded Reload
	s_waitcnt vmcnt(2)
	v_add_f64 v[28:29], v[66:67], -v[28:29]
	s_waitcnt vmcnt(0)
	v_div_fixup_f64 v[12:13], v[4:5], v[114:115], 1.0
	buffer_store_dword v12, off, s[28:31], 0 offset:272 ; 4-byte Folded Spill
	s_nop 0
	buffer_store_dword v13, off, s[28:31], 0 offset:276 ; 4-byte Folded Spill
	v_div_fixup_f64 v[4:5], v[60:61], v[120:121], 1.0
	buffer_store_dword v4, off, s[28:31], 0 offset:200 ; 4-byte Folded Spill
	s_nop 0
	buffer_store_dword v5, off, s[28:31], 0 offset:204 ; 4-byte Folded Spill
	buffer_store_dword v108, off, s[28:31], 0 offset:232 ; 4-byte Folded Spill
	s_nop 0
	buffer_store_dword v109, off, s[28:31], 0 offset:236 ; 4-byte Folded Spill
	;; [unrolled: 3-line block ×4, first 2 shown]
	v_fmac_f64_e32 v[0:1], v[28:29], v[92:93]
	v_mul_f64 v[0:1], v[0:1], s[0:1]
	v_add_f64 v[28:29], v[112:113], v[22:23]
	v_mul_f64 v[92:93], v[28:29], v[98:99]
	v_fma_f64 v[58:59], v[12:13], v[2:3], 0
	v_mul_f64 v[2:3], v[64:65], s[0:1]
	v_fmac_f64_e32 v[58:59], v[4:5], v[2:3]
	v_mul_f64 v[2:3], v[4:5], v[12:13]
	v_fmac_f64_e32 v[58:59], v[2:3], v[0:1]
	v_add_f64 v[0:1], v[34:35], v[82:83]
	v_add_f64 v[2:3], v[104:105], v[26:27]
	v_mul_f64 v[0:1], v[0:1], v[78:79]
	v_mul_f64 v[2:3], v[2:3], v[36:37]
	;; [unrolled: 1-line block ×4, first 2 shown]
	v_fma_f64 v[28:29], v[2:3], v[40:41], v[44:45]
	v_pk_mov_b32 v[98:99], v[34:35], v[34:35] op_sel:[0,1]
	v_fmac_f64_e32 v[98:99], 0xbfe80000, v[28:29]
	v_add_f64 v[28:29], v[16:17], v[100:101]
	v_add_co_u32_e32 v16, vcc, s16, v70
	v_mul_f64 v[100:101], v[28:29], v[102:103]
	v_addc_co_u32_e32 v17, vcc, v15, v71, vcc
	v_mul_f64 v[102:103], v[100:101], v[50:51]
	v_add_co_u32_e32 v60, vcc, s16, v74
	v_fma_f64 v[64:65], v[2:3], v[40:41], v[102:103]
	v_fma_f64 v[28:29], v[92:93], v[108:109], v[44:45]
	v_addc_co_u32_e32 v61, vcc, v15, v75, vcc
	v_fmac_f64_e32 v[64:65], 0x40080000, v[28:29]
	v_add_co_u32_e32 v28, vcc, s16, v72
	v_addc_co_u32_e32 v29, vcc, v15, v73, vcc
	global_load_dwordx2 v[104:105], v[60:61], off
	global_load_dwordx4 v[18:21], v[28:29], off
	s_waitcnt vmcnt(0)
	buffer_store_dword v18, off, s[28:31], 0 offset:784 ; 4-byte Folded Spill
	s_nop 0
	buffer_store_dword v19, off, s[28:31], 0 offset:788 ; 4-byte Folded Spill
	buffer_store_dword v20, off, s[28:31], 0 offset:792 ; 4-byte Folded Spill
	;; [unrolled: 1-line block ×3, first 2 shown]
	v_mul_f64 v[0:1], v[0:1], v[30:31]
	v_add_f64 v[60:61], v[18:19], -v[104:105]
	v_mul_f64 v[82:83], v[64:65], v[60:61]
	global_load_dwordx4 v[64:67], v[16:17], off
	s_nop 0
	buffer_store_dword v42, off, s[28:31], 0 offset:312 ; 4-byte Folded Spill
	s_nop 0
	buffer_store_dword v43, off, s[28:31], 0 offset:316 ; 4-byte Folded Spill
	s_waitcnt vmcnt(2)
	v_add_f64 v[60:61], v[64:65], -v[104:105]
	v_add_co_u32_e32 v64, vcc, s16, v76
	v_addc_co_u32_e32 v65, vcc, v15, v77, vcc
	global_load_dwordx4 v[70:73], v[64:65], off
	v_fmac_f64_e32 v[82:83], v[98:99], v[60:61]
	v_add_f64 v[60:61], v[10:11], v[6:7]
	v_mul_f64 v[98:99], v[60:61], v[8:9]
	v_fmac_f64_e32 v[34:35], v[98:99], v[42:43]
	v_fma_f64 v[60:61], v[100:101], v[50:51], v[44:45]
	v_fmac_f64_e32 v[34:35], 0x40080000, v[60:61]
	v_fmac_f64_e32 v[44:45], v[98:99], v[42:43]
	v_fmac_f64_e32 v[102:103], 0xbfe80000, v[44:45]
	s_waitcnt vmcnt(0)
	v_add_f64 v[60:61], v[70:71], -v[104:105]
	v_fmac_f64_e32 v[82:83], v[34:35], v[60:61]
	v_add_co_u32_e32 v34, vcc, s16, v94
	v_addc_co_u32_e32 v35, vcc, v15, v95, vcc
	global_load_dwordx4 v[74:77], v[34:35], off
	v_add_co_u32_e32 v6, vcc, s16, v84
	v_addc_co_u32_e32 v7, vcc, v15, v85, vcc
	buffer_store_dword v106, off, s[28:31], 0 offset:288 ; 4-byte Folded Spill
	s_nop 0
	buffer_store_dword v107, off, s[28:31], 0 offset:292 ; 4-byte Folded Spill
	buffer_store_dword v46, off, s[28:31], 0 offset:304 ; 4-byte Folded Spill
	s_nop 0
	buffer_store_dword v47, off, s[28:31], 0 offset:308 ; 4-byte Folded Spill
	;; [unrolled: 3-line block ×4, first 2 shown]
	s_waitcnt vmcnt(8)
	v_add_f64 v[44:45], v[74:75], -v[104:105]
	v_add_co_u32_e32 v74, vcc, s16, v88
	v_addc_co_u32_e32 v75, vcc, v15, v89, vcc
	v_add_co_u32_e32 v4, vcc, s16, v86
	v_addc_co_u32_e32 v5, vcc, v15, v87, vcc
	buffer_store_dword v4, off, s[28:31], 0 offset:472 ; 4-byte Folded Spill
	s_nop 0
	buffer_store_dword v5, off, s[28:31], 0 offset:476 ; 4-byte Folded Spill
	global_load_dwordx2 v[84:85], v[74:75], off
	global_load_dwordx4 v[8:11], v[4:5], off
	s_waitcnt vmcnt(0)
	buffer_store_dword v8, off, s[28:31], 0 offset:480 ; 4-byte Folded Spill
	s_nop 0
	buffer_store_dword v9, off, s[28:31], 0 offset:484 ; 4-byte Folded Spill
	buffer_store_dword v10, off, s[28:31], 0 offset:488 ; 4-byte Folded Spill
	;; [unrolled: 1-line block ×3, first 2 shown]
	v_mul_f64 v[70:71], v[92:93], v[106:107]
	v_fmac_f64_e32 v[82:83], v[102:103], v[44:45]
	v_fma_f64 v[44:45], v[2:3], v[46:47], v[0:1]
	v_pk_mov_b32 v[94:95], v[70:71], v[70:71] op_sel:[0,1]
	v_mul_f64 v[102:103], v[100:101], v[126:127]
	v_fmac_f64_e32 v[94:95], 0xbfe80000, v[44:45]
	v_fma_f64 v[2:3], v[2:3], v[46:47], v[102:103]
	v_fma_f64 v[44:45], v[92:93], v[106:107], v[0:1]
	v_fmac_f64_e32 v[2:3], 0x40080000, v[44:45]
	v_fmac_f64_e32 v[58:59], s[0:1], v[82:83]
	v_pk_mov_b32 v[10:11], v[114:115], v[114:115] op_sel:[0,1]
	v_pk_mov_b32 v[12:13], v[116:117], v[116:117] op_sel:[0,1]
	;; [unrolled: 1-line block ×4, first 2 shown]
	v_add_f64 v[74:75], v[8:9], -v[84:85]
	v_mul_f64 v[74:75], v[2:3], v[74:75]
	global_load_dwordx4 v[2:5], v[6:7], off
	s_waitcnt vmcnt(0)
	buffer_store_dword v2, off, s[28:31], 0 offset:528 ; 4-byte Folded Spill
	s_nop 0
	buffer_store_dword v3, off, s[28:31], 0 offset:532 ; 4-byte Folded Spill
	buffer_store_dword v4, off, s[28:31], 0 offset:536 ; 4-byte Folded Spill
	buffer_store_dword v5, off, s[28:31], 0 offset:540 ; 4-byte Folded Spill
	buffer_store_dword v48, off, s[28:31], 0 offset:392 ; 4-byte Folded Spill
	s_nop 0
	buffer_store_dword v49, off, s[28:31], 0 offset:396 ; 4-byte Folded Spill
	v_add_f64 v[2:3], v[2:3], -v[84:85]
	v_fmac_f64_e32 v[74:75], v[94:95], v[2:3]
	v_fma_f64 v[2:3], v[100:101], v[126:127], v[0:1]
	v_fmac_f64_e32 v[70:71], v[98:99], v[48:49]
	v_fmac_f64_e32 v[70:71], 0x40080000, v[2:3]
	v_add_co_u32_e32 v2, vcc, s16, v90
	v_addc_co_u32_e32 v3, vcc, v15, v91, vcc
	buffer_store_dword v2, off, s[28:31], 0 offset:504 ; 4-byte Folded Spill
	s_nop 0
	buffer_store_dword v3, off, s[28:31], 0 offset:508 ; 4-byte Folded Spill
	v_fmac_f64_e32 v[0:1], v[98:99], v[48:49]
	v_fmac_f64_e32 v[102:103], 0xbfe80000, v[0:1]
	v_add_co_u32_e32 v0, vcc, s16, v96
	v_addc_co_u32_e32 v1, vcc, v15, v97, vcc
	global_load_dwordx4 v[2:5], v[2:3], off
	s_waitcnt vmcnt(0)
	buffer_store_dword v2, off, s[28:31], 0 offset:512 ; 4-byte Folded Spill
	s_nop 0
	buffer_store_dword v3, off, s[28:31], 0 offset:516 ; 4-byte Folded Spill
	buffer_store_dword v4, off, s[28:31], 0 offset:520 ; 4-byte Folded Spill
	;; [unrolled: 1-line block ×4, first 2 shown]
	s_nop 0
	buffer_store_dword v1, off, s[28:31], 0 offset:548 ; 4-byte Folded Spill
	v_add_f64 v[2:3], v[2:3], -v[84:85]
	v_fmac_f64_e32 v[74:75], v[70:71], v[2:3]
	global_load_dwordx4 v[0:3], v[0:1], off
	s_waitcnt vmcnt(0)
	buffer_store_dword v0, off, s[28:31], 0 offset:552 ; 4-byte Folded Spill
	s_nop 0
	buffer_store_dword v1, off, s[28:31], 0 offset:556 ; 4-byte Folded Spill
	buffer_store_dword v2, off, s[28:31], 0 offset:560 ; 4-byte Folded Spill
	;; [unrolled: 1-line block ×3, first 2 shown]
	v_add_f64 v[0:1], v[0:1], -v[84:85]
	v_fmac_f64_e32 v[74:75], v[102:103], v[0:1]
	global_load_dwordx4 v[84:87], v[124:125], off offset:-16
	buffer_load_dword v0, off, s[28:31], 0 offset:456 ; 4-byte Folded Reload
	buffer_load_dword v1, off, s[28:31], 0 offset:460 ; 4-byte Folded Reload
	;; [unrolled: 1-line block ×4, first 2 shown]
	s_waitcnt vmcnt(2)
	v_mul_f64 v[0:1], v[0:1], v[84:85]
	s_waitcnt vmcnt(0)
	v_mul_f64 v[112:113], v[2:3], v[86:87]
	v_mul_f64 v[2:3], v[74:75], s[0:1]
	buffer_store_dword v2, off, s[28:31], 0 offset:456 ; 4-byte Folded Spill
	s_nop 0
	buffer_store_dword v3, off, s[28:31], 0 offset:460 ; 4-byte Folded Spill
	global_load_dwordx4 v[102:105], v[62:63], off offset:-16
	global_load_dwordx4 v[106:109], v[24:25], off offset:-16
	;; [unrolled: 1-line block ×4, first 2 shown]
	buffer_load_dword v40, off, s[28:31], 0 offset:664 ; 4-byte Folded Reload
	buffer_load_dword v41, off, s[28:31], 0 offset:668 ; 4-byte Folded Reload
	;; [unrolled: 1-line block ×4, first 2 shown]
	global_load_dwordx4 v[82:85], v[16:17], off offset:-16
	global_load_dwordx4 v[90:93], v[34:35], off offset:-16
	;; [unrolled: 1-line block ×4, first 2 shown]
	buffer_load_dword v50, off, s[28:31], 0 offset:824 ; 4-byte Folded Reload
	buffer_load_dword v51, off, s[28:31], 0 offset:828 ; 4-byte Folded Reload
	s_mov_b32 s1, 0x3fb55555
	s_waitcnt vmcnt(12)
	v_add_f64 v[2:3], v[106:107], -v[102:103]
	v_mul_f64 v[2:3], v[2:3], s[0:1]
	s_waitcnt vmcnt(10)
	v_add_f64 v[74:75], v[98:99], -v[94:95]
	v_fma_f64 v[2:3], v[74:75], s[4:5], -v[2:3]
	s_waitcnt vmcnt(8)
	v_mul_f64 v[0:1], v[40:41], v[0:1]
	v_mul_f64 v[126:127], v[2:3], v[0:1]
	s_waitcnt vmcnt(4)
	v_add_f64 v[0:1], v[90:91], -v[82:83]
	v_mul_f64 v[0:1], v[0:1], s[0:1]
	s_waitcnt vmcnt(2)
	v_add_f64 v[2:3], v[86:87], -v[78:79]
	v_fma_f64 v[74:75], v[2:3], s[4:5], -v[0:1]
	s_waitcnt vmcnt(0)
	global_load_dwordx4 v[0:3], v[50:51], off offset:-16
	buffer_load_dword v6, off, s[28:31], 0 offset:432 ; 4-byte Folded Reload
	buffer_load_dword v7, off, s[28:31], 0 offset:436 ; 4-byte Folded Reload
	;; [unrolled: 1-line block ×8, first 2 shown]
	v_add_f64 v[114:115], v[100:101], -v[96:97]
	v_mul_f64 v[112:113], v[42:43], v[112:113]
	s_waitcnt vmcnt(6)
	v_mul_f64 v[0:1], v[6:7], v[0:1]
	v_mul_f64 v[0:1], v[40:41], v[0:1]
	;; [unrolled: 1-line block ×4, first 2 shown]
	v_add_f64 v[0:1], v[108:109], -v[104:105]
	v_mul_f64 v[0:1], v[0:1], s[0:1]
	v_fma_f64 v[0:1], v[114:115], s[4:5], -v[0:1]
	v_mul_f64 v[0:1], v[0:1], v[112:113]
	v_add_f64 v[112:113], v[92:93], -v[84:85]
	s_waitcnt vmcnt(0)
	v_mul_f64 v[2:3], v[8:9], v[2:3]
	v_mul_f64 v[112:113], v[112:113], s[0:1]
	v_add_f64 v[114:115], v[88:89], -v[80:81]
	v_fma_f64 v[112:113], v[114:115], s[4:5], -v[112:113]
	v_mul_f64 v[2:3], v[42:43], v[2:3]
	v_mul_f64 v[2:3], v[112:113], v[2:3]
	v_mul_f64 v[112:113], v[10:11], v[2:3]
	v_fmac_f64_e32 v[112:113], v[38:39], v[0:1]
	buffer_load_dword v0, off, s[28:31], 0 offset:208 ; 4-byte Folded Reload
	buffer_load_dword v1, off, s[28:31], 0 offset:212 ; 4-byte Folded Reload
	;; [unrolled: 1-line block ×6, first 2 shown]
	v_add_u32_e32 v10, s9, v118
	v_fmac_f64_e32 v[74:75], v[36:37], v[126:127]
	v_add_f64 v[92:93], v[76:77], -v[92:93]
	s_waitcnt vmcnt(0)
	v_div_fixup_f64 v[0:1], v[4:5], v[2:3], v[0:1]
	buffer_store_dword v0, off, s[28:31], 0 offset:208 ; 4-byte Folded Spill
	s_nop 0
	buffer_store_dword v1, off, s[28:31], 0 offset:212 ; 4-byte Folded Spill
	buffer_load_dword v4, off, s[28:31], 0 offset:368 ; 4-byte Folded Reload
	buffer_load_dword v2, off, s[28:31], 0 offset:344 ; 4-byte Folded Reload
	s_waitcnt vmcnt(1)
	v_add3_u32 v44, v4, s7, v10
	buffer_load_dword v4, off, s[28:31], 0 offset:352 ; 4-byte Folded Reload
	buffer_load_dword v0, off, s[28:31], 0 offset:428 ; 4-byte Folded Reload
	s_waitcnt vmcnt(2)
	v_add3_u32 v27, v2, s7, v10
	v_add_u32_e32 v2, v27, v119
	v_ashrrev_i32_e32 v3, 31, v2
	v_lshlrev_b64 v[2:3], 3, v[2:3]
	v_add_u32_e32 v114, v44, v119
	v_ashrrev_i32_e32 v115, 31, v114
	v_lshlrev_b64 v[114:115], 3, v[114:115]
	s_waitcnt vmcnt(1)
	v_add3_u32 v60, v4, s7, v10
	s_waitcnt vmcnt(0)
	v_add3_u32 v26, v0, s7, v10
	v_add_u32_e32 v0, v26, v119
	v_ashrrev_i32_e32 v1, 31, v0
	v_lshlrev_b64 v[0:1], 3, v[0:1]
	v_add_co_u32_e32 v0, vcc, s16, v0
	v_addc_co_u32_e32 v1, vcc, v15, v1, vcc
	v_add_co_u32_e32 v2, vcc, s16, v2
	v_addc_co_u32_e32 v3, vcc, v15, v3, vcc
	v_add_u32_e32 v32, v60, v119
	v_add_co_u32_e32 v114, vcc, s16, v114
	v_ashrrev_i32_e32 v33, 31, v32
	v_addc_co_u32_e32 v115, vcc, v15, v115, vcc
	v_lshlrev_b64 v[32:33], 3, v[32:33]
	v_add_co_u32_e32 v32, vcc, s16, v32
	v_addc_co_u32_e32 v33, vcc, v15, v33, vcc
	global_load_dwordx2 v[0:1], v[0:1], off
	s_nop 0
	global_load_dwordx2 v[2:3], v[2:3], off
	s_nop 0
	;; [unrolled: 2-line block ×3, first 2 shown]
	global_load_dwordx2 v[32:33], v[32:33], off
	s_mul_i32 s7, s6, 3
	buffer_load_dword v4, off, s[28:31], 0 offset:424 ; 4-byte Folded Reload
	s_waitcnt vmcnt(3)
	v_add_f64 v[116:117], v[0:1], -v[2:3]
	v_mul_f64 v[116:117], v[116:117], s[0:1]
	s_waitcnt vmcnt(1)
	v_add_f64 v[126:127], v[18:19], -v[32:33]
	v_fma_f64 v[116:117], v[126:127], s[4:5], -v[116:117]
	s_waitcnt vmcnt(0)
	v_add_u32_e32 v126, v26, v4
	v_ashrrev_i32_e32 v127, 31, v126
	v_lshlrev_b64 v[126:127], 3, v[126:127]
	v_add_u32_e32 v10, v27, v4
	v_add_co_u32_e32 v126, vcc, s16, v126
	v_ashrrev_i32_e32 v11, 31, v10
	v_addc_co_u32_e32 v127, vcc, v15, v127, vcc
	v_lshlrev_b64 v[10:11], 3, v[10:11]
	v_add_u32_e32 v52, v44, v4
	v_add_co_u32_e32 v10, vcc, s16, v10
	v_ashrrev_i32_e32 v53, 31, v52
	v_addc_co_u32_e32 v11, vcc, v15, v11, vcc
	v_lshlrev_b64 v[52:53], 3, v[52:53]
	v_add_u32_e32 v48, v60, v4
	v_add_co_u32_e32 v52, vcc, s16, v52
	v_ashrrev_i32_e32 v49, 31, v48
	v_addc_co_u32_e32 v53, vcc, v15, v53, vcc
	v_lshlrev_b64 v[48:49], 3, v[48:49]
	v_add_co_u32_e32 v48, vcc, s16, v48
	v_addc_co_u32_e32 v49, vcc, v15, v49, vcc
	global_load_dwordx2 v[126:127], v[126:127], off
	s_nop 0
	global_load_dwordx2 v[10:11], v[10:11], off
	s_nop 0
	;; [unrolled: 2-line block ×4, first 2 shown]
	buffer_load_dword v4, off, s[28:31], 0 offset:620 ; 4-byte Folded Reload
	buffer_load_dword v5, off, s[28:31], 0 offset:624 ; 4-byte Folded Reload
	s_waitcnt vmcnt(5)
	v_add_f64 v[0:1], v[0:1], -v[126:127]
	s_waitcnt vmcnt(4)
	v_add_f64 v[38:39], v[126:127], -v[10:11]
	v_mul_f64 v[38:39], v[38:39], s[0:1]
	s_waitcnt vmcnt(2)
	v_add_f64 v[56:57], v[52:53], -v[48:49]
	v_fma_f64 v[38:39], v[56:57], s[4:5], -v[38:39]
	s_waitcnt vmcnt(0)
	v_mul_f64 v[38:39], v[4:5], v[38:39]
	buffer_load_dword v4, off, s[28:31], 0 offset:648 ; 4-byte Folded Reload
	buffer_load_dword v5, off, s[28:31], 0 offset:652 ; 4-byte Folded Reload
	v_add_f64 v[2:3], v[2:3], -v[10:11]
	v_mul_f64 v[2:3], v[2:3], s[0:1]
	v_mul_f64 v[0:1], v[0:1], s[0:1]
	s_waitcnt vmcnt(0)
	v_fma_f64 v[4:5], v[4:5], v[116:117], -v[38:39]
	buffer_store_dword v4, off, s[28:31], 0 offset:344 ; 4-byte Folded Spill
	s_nop 0
	buffer_store_dword v5, off, s[28:31], 0 offset:348 ; 4-byte Folded Spill
	buffer_load_dword v4, off, s[28:31], 0 offset:636 ; 4-byte Folded Reload
	s_waitcnt vmcnt(0)
	v_add_u32_e32 v38, v26, v4
	v_ashrrev_i32_e32 v39, 31, v38
	v_lshlrev_b64 v[38:39], 3, v[38:39]
	v_add_u32_e32 v56, v27, v4
	v_add_co_u32_e32 v38, vcc, s16, v38
	v_ashrrev_i32_e32 v57, 31, v56
	v_addc_co_u32_e32 v39, vcc, v15, v39, vcc
	v_lshlrev_b64 v[56:57], 3, v[56:57]
	v_add_u32_e32 v116, v44, v4
	v_add_co_u32_e32 v56, vcc, s16, v56
	v_ashrrev_i32_e32 v117, 31, v116
	v_addc_co_u32_e32 v57, vcc, v15, v57, vcc
	;; [unrolled: 5-line block ×3, first 2 shown]
	v_lshlrev_b64 v[36:37], 3, v[36:37]
	v_add_co_u32_e32 v36, vcc, s16, v36
	v_addc_co_u32_e32 v37, vcc, v15, v37, vcc
	global_load_dwordx2 v[38:39], v[38:39], off
	s_nop 0
	global_load_dwordx2 v[56:57], v[56:57], off
	s_nop 0
	;; [unrolled: 2-line block ×3, first 2 shown]
	global_load_dwordx2 v[36:37], v[36:37], off
	s_waitcnt vmcnt(2)
	v_add_f64 v[30:31], v[38:39], -v[56:57]
	buffer_load_dword v118, off, s[28:31], 0 offset:608 ; 4-byte Folded Reload
	v_mul_f64 v[30:31], v[30:31], s[0:1]
	s_waitcnt vmcnt(1)
	v_add_f64 v[12:13], v[4:5], -v[36:37]
	v_fma_f64 v[12:13], v[12:13], s[4:5], -v[30:31]
	s_waitcnt vmcnt(0)
	v_add_u32_e32 v30, v26, v118
	v_ashrrev_i32_e32 v31, 31, v30
	v_lshlrev_b64 v[30:31], 3, v[30:31]
	v_add_u32_e32 v26, v27, v118
	v_add_co_u32_e32 v30, vcc, s16, v30
	v_ashrrev_i32_e32 v27, 31, v26
	v_addc_co_u32_e32 v31, vcc, v15, v31, vcc
	v_lshlrev_b64 v[26:27], 3, v[26:27]
	v_add_u32_e32 v44, v44, v118
	v_add_co_u32_e32 v26, vcc, s16, v26
	v_ashrrev_i32_e32 v45, 31, v44
	v_addc_co_u32_e32 v27, vcc, v15, v27, vcc
	;; [unrolled: 5-line block ×3, first 2 shown]
	v_lshlrev_b64 v[60:61], 3, v[60:61]
	v_add_co_u32_e32 v60, vcc, s16, v60
	v_addc_co_u32_e32 v61, vcc, v15, v61, vcc
	global_load_dwordx2 v[30:31], v[30:31], off
	s_nop 0
	global_load_dwordx2 v[26:27], v[26:27], off
	s_nop 0
	;; [unrolled: 2-line block ×4, first 2 shown]
	buffer_load_dword v114, off, s[28:31], 0 offset:612 ; 4-byte Folded Reload
	buffer_load_dword v115, off, s[28:31], 0 offset:616 ; 4-byte Folded Reload
	s_waitcnt vmcnt(4)
	v_add_f64 v[118:119], v[30:31], -v[26:27]
	v_mul_f64 v[118:119], v[118:119], s[0:1]
	s_waitcnt vmcnt(2)
	v_add_f64 v[70:71], v[44:45], -v[60:61]
	v_fma_f64 v[70:71], v[70:71], s[4:5], -v[118:119]
	s_waitcnt vmcnt(0)
	v_mul_f64 v[70:71], v[114:115], v[70:71]
	buffer_load_dword v114, off, s[28:31], 0 offset:628 ; 4-byte Folded Reload
	buffer_load_dword v115, off, s[28:31], 0 offset:632 ; 4-byte Folded Reload
	v_add_f64 v[10:11], v[56:57], -v[26:27]
	v_fma_f64 v[2:3], v[10:11], s[4:5], -v[2:3]
	v_pk_mov_b32 v[118:119], v[6:7], v[6:7] op_sel:[0,1]
	v_pk_mov_b32 v[56:57], v[8:9], v[8:9] op_sel:[0,1]
	s_waitcnt vmcnt(0)
	v_fma_f64 v[12:13], v[114:115], v[12:13], -v[70:71]
	buffer_store_dword v12, off, s[28:31], 0 offset:352 ; 4-byte Folded Spill
	s_nop 0
	buffer_store_dword v13, off, s[28:31], 0 offset:356 ; 4-byte Folded Spill
	v_pk_mov_b32 v[116:117], v[42:43], v[42:43] op_sel:[0,1]
	v_pk_mov_b32 v[114:115], v[40:41], v[40:41] op_sel:[0,1]
	buffer_load_dword v70, off, s[28:31], 0 offset:584 ; 4-byte Folded Reload
	buffer_load_dword v71, off, s[28:31], 0 offset:588 ; 4-byte Folded Reload
	;; [unrolled: 1-line block ×4, first 2 shown]
	v_mul_f64 v[10:11], v[6:7], v[114:115]
	v_mul_f64 v[10:11], v[114:115], v[10:11]
	v_add_f64 v[12:13], v[38:39], -v[30:31]
	v_mul_f64 v[2:3], v[10:11], v[2:3]
	v_fma_f64 v[0:1], v[12:13], s[4:5], -v[0:1]
	s_waitcnt vmcnt(0)
	v_mul_f64 v[10:11], v[40:41], v[70:71]
	v_mul_f64 v[10:11], v[70:71], v[10:11]
	v_fma_f64 v[0:1], v[10:11], v[0:1], -v[2:3]
	buffer_store_dword v0, off, s[28:31], 0 offset:368 ; 4-byte Folded Spill
	s_nop 0
	buffer_store_dword v1, off, s[28:31], 0 offset:372 ; 4-byte Folded Spill
	v_add_f64 v[0:1], v[18:19], -v[52:53]
	v_add_f64 v[2:3], v[4:5], -v[44:45]
	buffer_load_dword v52, off, s[28:31], 0 offset:376 ; 4-byte Folded Reload
	buffer_load_dword v53, off, s[28:31], 0 offset:380 ; 4-byte Folded Reload
	;; [unrolled: 1-line block ×6, first 2 shown]
	v_mul_f64 v[0:1], v[0:1], s[0:1]
	v_fma_f64 v[0:1], v[2:3], s[4:5], -v[0:1]
	v_add_f64 v[2:3], v[32:33], -v[48:49]
	v_add_f64 v[10:11], v[36:37], -v[60:61]
	v_mul_f64 v[2:3], v[2:3], s[0:1]
	v_fma_f64 v[2:3], v[10:11], s[4:5], -v[2:3]
	v_mul_f64 v[10:11], v[8:9], v[116:117]
	v_mul_f64 v[10:11], v[116:117], v[10:11]
	;; [unrolled: 1-line block ×3, first 2 shown]
	s_waitcnt vmcnt(0)
	v_pk_mov_b32 v[126:127], v[6:7], v[6:7] op_sel:[0,1]
	v_mul_f64 v[10:11], v[52:53], v[126:127]
	v_mul_f64 v[10:11], v[126:127], v[10:11]
	v_fma_f64 v[18:19], v[10:11], v[0:1], -v[2:3]
	buffer_load_dword v0, off, s[28:31], 0 offset:360 ; 4-byte Folded Reload
	buffer_load_dword v1, off, s[28:31], 0 offset:364 ; 4-byte Folded Reload
	;; [unrolled: 1-line block ×6, first 2 shown]
	s_waitcnt vmcnt(0)
	v_mul_f64 v[2:3], v[0:1], v[4:5]
	buffer_load_dword v0, off, s[28:31], 0 offset:800 ; 4-byte Folded Reload
	buffer_load_dword v1, off, s[28:31], 0 offset:804 ; 4-byte Folded Reload
	global_load_dwordx2 v[10:11], v[24:25], off offset:16
	buffer_load_dword v4, off, s[28:31], 0 offset:728 ; 4-byte Folded Reload
	buffer_load_dword v5, off, s[28:31], 0 offset:732 ; 4-byte Folded Reload
	v_add_f64 v[24:25], v[68:69], -v[108:109]
	v_mul_f64 v[2:3], v[126:127], v[2:3]
	s_waitcnt vmcnt(4)
	v_add_co_u32_e32 v0, vcc, s22, v0
	s_waitcnt vmcnt(2)
	v_add_f64 v[12:13], v[10:11], -v[106:107]
	v_addc_co_u32_e32 v1, vcc, v14, v1, vcc
	v_mul_f64 v[12:13], v[12:13], s[0:1]
	v_fma_f64 v[12:13], v[24:25], s[4:5], -v[12:13]
	s_waitcnt vmcnt(1)
	v_add_co_u32_e32 v24, vcc, s22, v4
	s_waitcnt vmcnt(0)
	v_addc_co_u32_e32 v25, vcc, v14, v5, vcc
	buffer_load_dword v4, off, s[28:31], 0 offset:776 ; 4-byte Folded Reload
	buffer_load_dword v5, off, s[28:31], 0 offset:780 ; 4-byte Folded Reload
	s_waitcnt vmcnt(1)
	v_add_co_u32_e32 v26, vcc, s22, v4
	s_waitcnt vmcnt(0)
	v_addc_co_u32_e32 v27, vcc, v14, v5, vcc
	buffer_load_dword v4, off, s[28:31], 0 offset:704 ; 4-byte Folded Reload
	buffer_load_dword v5, off, s[28:31], 0 offset:708 ; 4-byte Folded Reload
	global_load_dwordx2 v[106:107], v[0:1], off
	s_nop 0
	buffer_load_dword v0, off, s[28:31], 0 offset:736 ; 4-byte Folded Reload
	buffer_load_dword v1, off, s[28:31], 0 offset:740 ; 4-byte Folded Reload
	s_waitcnt vmcnt(4)
	v_add_co_u32_e32 v30, vcc, s22, v4
	s_waitcnt vmcnt(3)
	v_addc_co_u32_e32 v31, vcc, v14, v5, vcc
	buffer_load_dword v4, off, s[28:31], 0 offset:712 ; 4-byte Folded Reload
	buffer_load_dword v5, off, s[28:31], 0 offset:716 ; 4-byte Folded Reload
	;; [unrolled: 1-line block ×4, first 2 shown]
	s_waitcnt vmcnt(4)
	v_mul_f64 v[0:1], v[0:1], v[106:107]
	v_mul_f64 v[12:13], v[0:1], v[12:13]
	global_load_dwordx2 v[38:39], v[24:25], off
	s_waitcnt vmcnt(1)
	v_pk_mov_b32 v[4:5], v[6:7], v[6:7] op_sel:[0,1]
	v_add_f64 v[32:33], v[68:69], -v[4:5]
	v_add_f64 v[0:1], v[4:5], -v[104:105]
	global_load_dwordx2 v[6:7], v[62:63], off offset:16
	buffer_load_dword v4, off, s[28:31], 0 offset:640 ; 4-byte Folded Reload
	buffer_load_dword v5, off, s[28:31], 0 offset:644 ; 4-byte Folded Reload
	v_mul_f64 v[32:33], v[32:33], s[0:1]
	s_waitcnt vmcnt(2)
	v_add_f64 v[36:37], v[6:7], -v[102:103]
	s_waitcnt vmcnt(0)
	v_mul_f64 v[24:25], v[4:5], v[38:39]
	global_load_dwordx2 v[4:5], v[54:55], off offset:16
	buffer_load_dword v44, off, s[28:31], 0 offset:744 ; 4-byte Folded Reload
	buffer_load_dword v45, off, s[28:31], 0 offset:748 ; 4-byte Folded Reload
	;; [unrolled: 1-line block ×4, first 2 shown]
	v_mul_f64 v[36:37], v[36:37], s[0:1]
	v_fma_f64 v[0:1], v[0:1], s[4:5], -v[36:37]
	v_mul_f64 v[24:25], v[24:25], v[0:1]
	v_mul_f64 v[68:69], v[120:121], v[24:25]
	v_add_f64 v[6:7], v[10:11], -v[6:7]
	v_mul_f64 v[6:7], v[6:7], s[0:1]
	s_waitcnt vmcnt(4)
	v_add_f64 v[0:1], v[4:5], -v[98:99]
	s_waitcnt vmcnt(0)
	v_add_f64 v[36:37], v[46:47], -v[100:101]
	v_mul_f64 v[0:1], v[0:1], s[0:1]
	v_fma_f64 v[36:37], v[36:37], s[4:5], -v[0:1]
	global_load_dwordx2 v[0:1], v[26:27], off
	buffer_load_dword v8, off, s[28:31], 0 offset:680 ; 4-byte Folded Reload
	buffer_load_dword v9, off, s[28:31], 0 offset:684 ; 4-byte Folded Reload
	;; [unrolled: 1-line block ×6, first 2 shown]
	global_load_dwordx2 v[48:49], v[110:111], off offset:16
	global_load_dwordx2 v[102:103], v[30:31], off
	s_waitcnt vmcnt(6)
	v_mul_f64 v[26:27], v[8:9], v[0:1]
	s_waitcnt vmcnt(2)
	v_pk_mov_b32 v[8:9], v[44:45], v[44:45] op_sel:[0,1]
	v_mul_f64 v[26:27], v[26:27], v[36:37]
	v_add_f64 v[36:37], v[46:47], -v[8:9]
	v_add_f64 v[44:45], v[8:9], -v[96:97]
	buffer_load_dword v8, off, s[28:31], 0 offset:656 ; 4-byte Folded Reload
	buffer_load_dword v9, off, s[28:31], 0 offset:660 ; 4-byte Folded Reload
	s_waitcnt vmcnt(3)
	v_add_f64 v[46:47], v[48:49], -v[94:95]
	v_mul_f64 v[46:47], v[46:47], s[0:1]
	v_fma_f64 v[44:45], v[44:45], s[4:5], -v[46:47]
	v_fma_f64 v[32:33], v[36:37], s[4:5], -v[32:33]
	v_mul_f64 v[2:3], v[32:33], v[2:3]
	v_add_f64 v[36:37], v[76:77], -v[66:67]
	v_mul_f64 v[36:37], v[36:37], s[0:1]
	v_mul_f64 v[94:95], v[120:121], v[12:13]
	v_add_f64 v[4:5], v[4:5], -v[48:49]
	v_fma_f64 v[4:5], v[4:5], s[4:5], -v[6:7]
	v_add_f64 v[76:77], v[66:67], -v[84:85]
	v_add_f64 v[66:67], v[72:73], -v[88:89]
	v_mul_f64 v[96:97], v[120:121], v[26:27]
	s_waitcnt vmcnt(0)
	v_mul_f64 v[30:31], v[8:9], v[102:103]
	v_mul_f64 v[30:31], v[30:31], v[44:45]
	buffer_load_dword v42, off, s[28:31], 0 offset:760 ; 4-byte Folded Reload
	buffer_load_dword v43, off, s[28:31], 0 offset:764 ; 4-byte Folded Reload
	;; [unrolled: 1-line block ×4, first 2 shown]
	v_mul_f64 v[46:47], v[120:121], v[30:31]
	s_waitcnt vmcnt(0)
	v_mul_f64 v[32:33], v[52:53], v[44:45]
	v_pk_mov_b32 v[44:45], v[52:53], v[52:53] op_sel:[0,1]
	buffer_load_dword v52, off, s[28:31], 0 offset:784 ; 4-byte Folded Reload
	buffer_load_dword v53, off, s[28:31], 0 offset:788 ; 4-byte Folded Reload
	;; [unrolled: 1-line block ×4, first 2 shown]
	v_mul_f64 v[32:33], v[126:127], v[32:33]
	global_load_dwordx2 v[12:13], v[34:35], off offset:16
	s_waitcnt vmcnt(1)
	v_pk_mov_b32 v[8:9], v[54:55], v[54:55] op_sel:[0,1]
	v_add_f64 v[42:43], v[72:73], -v[8:9]
	v_fma_f64 v[36:37], v[42:43], s[4:5], -v[36:37]
	v_mul_f64 v[32:33], v[36:37], v[32:33]
	v_mul_f64 v[42:43], v[20:21], v[32:33]
	v_pk_mov_b32 v[54:55], v[22:23], v[22:23] op_sel:[0,1]
	v_pk_mov_b32 v[52:53], v[20:21], v[20:21] op_sel:[0,1]
	global_load_dwordx2 v[22:23], v[64:65], off offset:16
	v_fmac_f64_e32 v[42:43], v[122:123], v[2:3]
	global_load_dwordx2 v[20:21], v[16:17], off offset:16
	global_load_dwordx2 v[24:25], v[28:29], off offset:16
	v_add_f64 v[36:37], v[8:9], -v[80:81]
	global_load_dwordx2 v[2:3], v[124:125], off offset:16
	buffer_load_dword v8, off, s[28:31], 0 offset:568 ; 4-byte Folded Reload
	buffer_load_dword v9, off, s[28:31], 0 offset:572 ; 4-byte Folded Reload
	v_pk_mov_b32 v[16:17], v[40:41], v[40:41] op_sel:[0,1]
	s_waitcnt vmcnt(6)
	v_add_f64 v[90:91], v[12:13], -v[90:91]
	v_pk_mov_b32 v[122:123], v[54:55], v[54:55] op_sel:[0,1]
	v_pk_mov_b32 v[120:121], v[52:53], v[52:53] op_sel:[0,1]
	s_waitcnt vmcnt(5)
	v_add_f64 v[72:73], v[22:23], -v[86:87]
	s_waitcnt vmcnt(4)
	v_add_f64 v[82:83], v[20:21], -v[82:83]
	;; [unrolled: 2-line block ×3, first 2 shown]
	v_add_f64 v[80:81], v[24:25], -v[78:79]
	s_waitcnt vmcnt(0)
	v_mul_f64 v[2:3], v[8:9], v[2:3]
	v_mul_f64 v[2:3], v[70:71], v[2:3]
	;; [unrolled: 1-line block ×3, first 2 shown]
	v_add_f64 v[4:5], v[12:13], -v[20:21]
	v_mul_f64 v[4:5], v[4:5], s[0:1]
	v_fma_f64 v[4:5], v[6:7], s[4:5], -v[4:5]
	global_load_dwordx2 v[6:7], v[50:51], off offset:16
	s_waitcnt vmcnt(0)
	v_mul_f64 v[6:7], v[16:17], v[6:7]
	v_mul_f64 v[6:7], v[70:71], v[6:7]
	;; [unrolled: 1-line block ×4, first 2 shown]
	buffer_load_dword v4, off, s[28:31], 0 offset:248 ; 4-byte Folded Reload
	buffer_load_dword v5, off, s[28:31], 0 offset:252 ; 4-byte Folded Reload
	;; [unrolled: 1-line block ×4, first 2 shown]
	s_waitcnt vmcnt(2)
	v_fmac_f64_e32 v[12:13], v[4:5], v[2:3]
	s_waitcnt vmcnt(0)
	global_load_dwordx4 v[2:5], v[10:11], off offset:-16
	buffer_load_dword v22, off, s[28:31], 0 offset:552 ; 4-byte Folded Reload
	buffer_load_dword v23, off, s[28:31], 0 offset:556 ; 4-byte Folded Reload
	;; [unrolled: 1-line block ×10, first 2 shown]
	s_waitcnt vmcnt(6)
	v_add_f64 v[8:9], v[24:25], -v[4:5]
	s_waitcnt vmcnt(2)
	v_pk_mov_b32 v[6:7], v[22:23], v[22:23] op_sel:[0,1]
	s_waitcnt vmcnt(0)
	global_load_dwordx4 v[20:23], v[26:27], off offset:-16
	v_add_f64 v[78:79], v[24:25], -v[6:7]
	global_load_dwordx2 v[10:11], v[10:11], off offset:16
	s_waitcnt vmcnt(1)
	v_add_f64 v[6:7], v[6:7], -v[22:23]
	global_load_dwordx2 v[26:27], v[26:27], off offset:16
	s_nop 0
	buffer_load_dword v48, off, s[28:31], 0 offset:504 ; 4-byte Folded Reload
	buffer_load_dword v49, off, s[28:31], 0 offset:508 ; 4-byte Folded Reload
	v_add_f64 v[24:25], v[2:3], -v[20:21]
	v_add_f64 v[62:63], v[4:5], -v[22:23]
	s_waitcnt vmcnt(3)
	v_add_f64 v[52:53], v[10:11], -v[2:3]
	s_waitcnt vmcnt(2)
	;; [unrolled: 2-line block ×3, first 2 shown]
	global_load_dwordx4 v[20:23], v[48:49], off offset:-16
	buffer_load_dword v30, off, s[28:31], 0 offset:512 ; 4-byte Folded Reload
	buffer_load_dword v31, off, s[28:31], 0 offset:516 ; 4-byte Folded Reload
	;; [unrolled: 1-line block ×10, first 2 shown]
	v_add_f64 v[10:11], v[10:11], -v[26:27]
	v_mul_f64 v[10:11], v[10:11], s[0:1]
	s_waitcnt vmcnt(6)
	v_add_f64 v[4:5], v[32:33], -v[22:23]
	s_waitcnt vmcnt(2)
	v_pk_mov_b32 v[2:3], v[30:31], v[30:31] op_sel:[0,1]
	v_add_f64 v[60:61], v[32:33], -v[2:3]
	s_waitcnt vmcnt(0)
	global_load_dwordx4 v[32:35], v[28:29], off offset:-16
	global_load_dwordx2 v[30:31], v[48:49], off offset:16
	s_waitcnt vmcnt(1)
	v_add_f64 v[2:3], v[2:3], -v[34:35]
	v_add_f64 v[64:65], v[22:23], -v[34:35]
	global_load_dwordx2 v[22:23], v[28:29], off offset:16
	buffer_load_dword v34, off, s[28:31], 0 offset:384 ; 4-byte Folded Reload
	buffer_load_dword v35, off, s[28:31], 0 offset:388 ; 4-byte Folded Reload
	s_waitcnt vmcnt(3)
	v_add_f64 v[48:49], v[30:31], -v[20:21]
	v_add_f64 v[20:21], v[20:21], -v[32:33]
	s_waitcnt vmcnt(2)
	v_add_f64 v[28:29], v[22:23], -v[32:33]
	s_waitcnt vmcnt(0)
	global_load_dwordx2 v[32:33], v[34:35], off offset:16
	v_add_f64 v[22:23], v[30:31], -v[22:23]
	v_fma_f64 v[10:11], v[22:23], s[4:5], -v[10:11]
	v_mul_f64 v[30:31], v[40:41], s[0:1]
	v_fma_f64 v[6:7], v[6:7], s[4:5], -v[30:31]
	v_mul_f64 v[30:31], v[48:49], s[0:1]
	;; [unrolled: 2-line block ×3, first 2 shown]
	v_fma_f64 v[2:3], v[2:3], s[4:5], -v[28:29]
	s_waitcnt vmcnt(0)
	v_mul_f64 v[32:33], v[16:17], v[32:33]
	v_mul_f64 v[32:33], v[70:71], v[32:33]
	v_fmac_f64_e32 v[12:13], v[10:11], v[32:33]
	v_mul_f64 v[10:11], v[24:25], s[0:1]
	v_fma_f64 v[32:33], v[20:21], s[4:5], -v[10:11]
	global_load_dwordx4 v[20:23], v[34:35], off offset:-16
	buffer_load_dword v24, off, s[28:31], 0 offset:328 ; 4-byte Folded Reload
	buffer_load_dword v25, off, s[28:31], 0 offset:332 ; 4-byte Folded Reload
	;; [unrolled: 1-line block ×4, first 2 shown]
	s_waitcnt vmcnt(2)
	v_mul_f64 v[24:25], v[52:53], s[0:1]
	v_fma_f64 v[8:9], v[8:9], s[4:5], -v[24:25]
	v_mul_f64 v[10:11], v[118:119], v[20:21]
	v_mul_f64 v[10:11], v[114:115], v[10:11]
	v_fmac_f64_e32 v[74:75], v[32:33], v[10:11]
	s_waitcnt vmcnt(0)
	v_mul_f64 v[10:11], v[44:45], v[26:27]
	v_mul_f64 v[20:21], v[78:79], s[0:1]
	;; [unrolled: 1-line block ×3, first 2 shown]
	v_fma_f64 v[20:21], v[60:61], s[4:5], -v[20:21]
	v_fmac_f64_e32 v[42:43], v[20:21], v[10:11]
	v_mul_f64 v[10:11], v[56:57], v[22:23]
	v_mul_f64 v[20:21], v[62:63], s[0:1]
	;; [unrolled: 1-line block ×3, first 2 shown]
	v_fma_f64 v[20:21], v[64:65], s[4:5], -v[20:21]
	v_fmac_f64_e32 v[112:113], v[20:21], v[10:11]
	buffer_load_dword v32, off, s[28:31], 0 offset:272 ; 4-byte Folded Reload
	buffer_load_dword v33, off, s[28:31], 0 offset:276 ; 4-byte Folded Reload
	;; [unrolled: 1-line block ×4, first 2 shown]
	s_waitcnt vmcnt(0)
	v_fmac_f64_e32 v[58:59], v[32:33], v[10:11]
	buffer_load_dword v10, off, s[28:31], 0 offset:344 ; 4-byte Folded Reload
	buffer_load_dword v11, off, s[28:31], 0 offset:348 ; 4-byte Folded Reload
	;; [unrolled: 1-line block ×4, first 2 shown]
	s_waitcnt vmcnt(2)
	v_mul_f64 v[10:11], v[10:11], s[0:1]
	s_waitcnt vmcnt(0)
	v_fma_f64 v[10:11], v[16:17], s[4:5], -v[10:11]
	buffer_load_dword v16, off, s[28:31], 0 offset:368 ; 4-byte Folded Reload
	buffer_load_dword v17, off, s[28:31], 0 offset:372 ; 4-byte Folded Reload
	v_add_f64 v[10:11], v[58:59], v[10:11]
	s_waitcnt vmcnt(0)
	v_mul_f64 v[20:21], v[16:17], s[0:1]
	v_fma_f64 v[20:21], v[18:19], s[4:5], -v[20:21]
	buffer_load_dword v16, off, s[28:31], 0 offset:296 ; 4-byte Folded Reload
	buffer_load_dword v17, off, s[28:31], 0 offset:300 ; 4-byte Folded Reload
	;; [unrolled: 1-line block ×4, first 2 shown]
	v_add_f64 v[10:11], v[20:21], v[10:11]
	v_mul_f64 v[20:21], v[90:91], s[0:1]
	v_fma_f64 v[20:21], v[92:93], s[4:5], -v[20:21]
	s_waitcnt vmcnt(0)
	v_mul_f64 v[22:23], v[16:17], v[18:19]
	buffer_load_dword v18, off, s[28:31], 0 offset:392 ; 4-byte Folded Reload
	buffer_load_dword v19, off, s[28:31], 0 offset:396 ; 4-byte Folded Reload
	v_mul_f64 v[26:27], v[22:23], v[106:107]
	v_mul_f64 v[20:21], v[26:27], v[20:21]
	v_fmac_f64_e32 v[20:21], v[32:33], v[94:95]
	s_waitcnt vmcnt(0)
	v_mul_f64 v[22:23], v[16:17], v[18:19]
	v_mul_f64 v[22:23], v[22:23], v[106:107]
	;; [unrolled: 1-line block ×3, first 2 shown]
	v_fmac_f64_e32 v[20:21], v[32:33], v[8:9]
	v_mul_f64 v[8:9], v[82:83], s[0:1]
	v_fma_f64 v[22:23], v[76:77], s[4:5], -v[8:9]
	buffer_load_dword v16, off, s[28:31], 0 offset:256 ; 4-byte Folded Reload
	buffer_load_dword v17, off, s[28:31], 0 offset:260 ; 4-byte Folded Reload
	;; [unrolled: 1-line block ×6, first 2 shown]
	s_waitcnt vmcnt(2)
	v_mul_f64 v[8:9], v[16:17], v[8:9]
	v_mul_f64 v[8:9], v[8:9], v[38:39]
	s_waitcnt vmcnt(0)
	v_mul_f64 v[24:25], v[16:17], v[18:19]
	v_mul_f64 v[22:23], v[8:9], v[22:23]
	;; [unrolled: 1-line block ×3, first 2 shown]
	v_fmac_f64_e32 v[22:23], v[32:33], v[68:69]
	v_mul_f64 v[6:7], v[24:25], v[6:7]
	v_fmac_f64_e32 v[22:23], v[32:33], v[6:7]
	v_mul_f64 v[6:7], v[72:73], s[0:1]
	v_add_f64 v[20:21], v[20:21], -v[22:23]
	v_fma_f64 v[22:23], v[66:67], s[4:5], -v[6:7]
	buffer_load_dword v16, off, s[28:31], 0 offset:240 ; 4-byte Folded Reload
	buffer_load_dword v17, off, s[28:31], 0 offset:244 ; 4-byte Folded Reload
	;; [unrolled: 1-line block ×6, first 2 shown]
	v_mul_f64 v[20:21], v[20:21], s[0:1]
	s_waitcnt vmcnt(2)
	v_mul_f64 v[6:7], v[16:17], v[6:7]
	v_mul_f64 v[6:7], v[6:7], v[0:1]
	s_waitcnt vmcnt(0)
	v_mul_f64 v[24:25], v[16:17], v[18:19]
	v_mul_f64 v[22:23], v[6:7], v[22:23]
	;; [unrolled: 1-line block ×3, first 2 shown]
	v_fmac_f64_e32 v[22:23], v[32:33], v[96:97]
	v_mul_f64 v[4:5], v[24:25], v[4:5]
	v_fmac_f64_e32 v[22:23], v[32:33], v[4:5]
	v_mul_f64 v[4:5], v[80:81], s[0:1]
	v_fma_f64 v[24:25], v[36:37], s[4:5], -v[4:5]
	buffer_load_dword v16, off, s[28:31], 0 offset:224 ; 4-byte Folded Reload
	buffer_load_dword v17, off, s[28:31], 0 offset:228 ; 4-byte Folded Reload
	;; [unrolled: 1-line block ×6, first 2 shown]
	s_waitcnt vmcnt(2)
	v_mul_f64 v[4:5], v[16:17], v[4:5]
	v_mul_f64 v[4:5], v[4:5], v[102:103]
	s_waitcnt vmcnt(0)
	v_mul_f64 v[30:31], v[16:17], v[18:19]
	v_mul_f64 v[24:25], v[4:5], v[24:25]
	;; [unrolled: 1-line block ×3, first 2 shown]
	v_fmac_f64_e32 v[24:25], v[32:33], v[46:47]
	v_mul_f64 v[2:3], v[28:29], v[2:3]
	v_fmac_f64_e32 v[24:25], v[32:33], v[2:3]
	v_add_f64 v[2:3], v[22:23], -v[24:25]
	v_fma_f64 v[2:3], v[2:3], s[4:5], -v[20:21]
	v_add_f64 v[2:3], v[10:11], v[2:3]
	v_add_f64 v[10:11], v[12:13], -v[74:75]
	v_add_f64 v[12:13], v[42:43], -v[112:113]
	v_mul_f64 v[10:11], v[10:11], s[0:1]
	v_fma_f64 v[10:11], v[12:13], s[4:5], -v[10:11]
	buffer_load_dword v16, off, s[28:31], 0 offset:188 ; 4-byte Folded Reload
	buffer_load_dword v12, off, s[28:31], 0 offset:220 ; 4-byte Folded Reload
	;; [unrolled: 1-line block ×6, first 2 shown]
	v_fmac_f64_e32 v[2:3], v[32:33], v[10:11]
	buffer_load_dword v90, off, s[28:31], 0 offset:216 ; 4-byte Folded Reload
	s_waitcnt vmcnt(5)
	v_add3_u32 v20, v16, v12, s6
	v_ashrrev_i32_e32 v21, 31, v20
	v_lshlrev_b64 v[10:11], 3, v[20:21]
	s_waitcnt vmcnt(4)
	v_add3_u32 v22, v71, v12, s6
	v_add_co_u32_e32 v28, vcc, s16, v10
	v_mov_b32_e32 v17, v12
	v_ashrrev_i32_e32 v23, 31, v22
	v_addc_co_u32_e32 v29, vcc, v15, v11, vcc
	v_lshlrev_b64 v[10:11], 3, v[22:23]
	s_waitcnt vmcnt(3)
	v_add3_u32 v24, v78, v17, s6
	v_add_co_u32_e32 v44, vcc, s16, v10
	v_ashrrev_i32_e32 v25, 31, v24
	v_addc_co_u32_e32 v45, vcc, v15, v11, vcc
	v_lshlrev_b64 v[10:11], 3, v[24:25]
	s_waitcnt vmcnt(1)
	v_add3_u32 v32, v70, v17, s6
	v_add_co_u32_e32 v12, vcc, s16, v10
	v_ashrrev_i32_e32 v33, 31, v32
	v_addc_co_u32_e32 v13, vcc, v15, v11, vcc
	v_lshlrev_b64 v[10:11], 3, v[32:33]
	v_add_u32_e32 v20, s6, v20
	v_add_co_u32_e32 v10, vcc, s16, v10
	v_ashrrev_i32_e32 v21, 31, v20
	v_addc_co_u32_e32 v11, vcc, v15, v11, vcc
	v_lshlrev_b64 v[20:21], 3, v[20:21]
	v_add_co_u32_e32 v30, vcc, s16, v20
	v_add_u32_e32 v20, s6, v22
	v_addc_co_u32_e32 v31, vcc, v15, v21, vcc
	v_ashrrev_i32_e32 v21, 31, v20
	v_lshlrev_b64 v[20:21], 3, v[20:21]
	v_add_co_u32_e32 v46, vcc, s16, v20
	v_add_u32_e32 v20, s6, v24
	v_addc_co_u32_e32 v47, vcc, v15, v21, vcc
	v_ashrrev_i32_e32 v21, 31, v20
	v_lshlrev_b64 v[20:21], 3, v[20:21]
	v_add_u32_e32 v22, s6, v32
	v_add_co_u32_e32 v20, vcc, s16, v20
	v_ashrrev_i32_e32 v23, 31, v22
	v_addc_co_u32_e32 v21, vcc, v15, v21, vcc
	v_lshlrev_b64 v[22:23], 3, v[22:23]
	v_add3_u32 v34, v16, v79, s6
	v_add_co_u32_e32 v22, vcc, s16, v22
	v_ashrrev_i32_e32 v35, 31, v34
	v_addc_co_u32_e32 v23, vcc, v15, v23, vcc
	v_lshlrev_b64 v[24:25], 3, v[34:35]
	v_add3_u32 v40, v71, v79, s6
	;; [unrolled: 5-line block ×3, first 2 shown]
	v_add_co_u32_e32 v50, vcc, s16, v24
	v_ashrrev_i32_e32 v49, 31, v48
	v_addc_co_u32_e32 v51, vcc, v15, v25, vcc
	v_lshlrev_b64 v[24:25], 3, v[48:49]
	buffer_load_dword v49, off, s[28:31], 0 offset:192 ; 4-byte Folded Reload
	v_add_u32_e32 v34, s6, v34
	v_add_co_u32_e32 v24, vcc, s16, v24
	v_ashrrev_i32_e32 v35, 31, v34
	v_addc_co_u32_e32 v25, vcc, v15, v25, vcc
	v_lshlrev_b64 v[34:35], 3, v[34:35]
	v_add_co_u32_e32 v36, vcc, s16, v34
	v_add_u32_e32 v34, s6, v40
	v_addc_co_u32_e32 v37, vcc, v15, v35, vcc
	v_ashrrev_i32_e32 v35, 31, v34
	v_lshlrev_b64 v[34:35], 3, v[34:35]
	v_add_co_u32_e32 v56, vcc, s16, v34
	s_waitcnt vmcnt(1)
	v_add3_u32 v34, v16, v90, s6
	v_addc_co_u32_e32 v57, vcc, v15, v35, vcc
	v_ashrrev_i32_e32 v35, 31, v34
	v_lshlrev_b64 v[40:41], 3, v[34:35]
	v_add3_u32 v42, v71, v90, s6
	v_add_co_u32_e32 v40, vcc, s16, v40
	v_ashrrev_i32_e32 v43, 31, v42
	v_addc_co_u32_e32 v41, vcc, v15, v41, vcc
	v_lshlrev_b64 v[52:53], 3, v[42:43]
	v_add_u32_e32 v34, s6, v34
	v_add_co_u32_e32 v52, vcc, s16, v52
	v_ashrrev_i32_e32 v35, 31, v34
	v_addc_co_u32_e32 v53, vcc, v15, v53, vcc
	v_lshlrev_b64 v[34:35], 3, v[34:35]
	v_add_u32_e32 v42, s6, v42
	v_add_co_u32_e32 v34, vcc, s16, v34
	v_ashrrev_i32_e32 v43, 31, v42
	v_addc_co_u32_e32 v35, vcc, v15, v35, vcc
	v_lshlrev_b64 v[42:43], 3, v[42:43]
	v_add_co_u32_e32 v64, vcc, s16, v42
	v_addc_co_u32_e32 v65, vcc, v15, v43, vcc
	v_add_u32_e32 v48, s6, v48
	s_waitcnt vmcnt(0)
	v_add3_u32 v42, v16, v49, s6
	buffer_load_dword v16, off, s[28:31], 0 offset:156 ; 4-byte Folded Reload
	v_ashrrev_i32_e32 v43, 31, v42
	v_lshlrev_b64 v[54:55], 3, v[42:43]
	v_add_u32_e32 v42, s6, v42
	v_add_co_u32_e32 v58, vcc, s16, v54
	v_ashrrev_i32_e32 v43, 31, v42
	v_addc_co_u32_e32 v59, vcc, v15, v55, vcc
	v_lshlrev_b64 v[42:43], 3, v[42:43]
	v_add_co_u32_e32 v66, vcc, s16, v42
	v_addc_co_u32_e32 v67, vcc, v15, v43, vcc
	s_waitcnt vmcnt(0)
	v_add_u32_e32 v42, s7, v16
	v_ashrrev_i32_e32 v43, 31, v42
	v_lshlrev_b64 v[54:55], 3, v[42:43]
	v_add_co_u32_e32 v60, vcc, s22, v54
	v_addc_co_u32_e32 v61, vcc, v14, v55, vcc
	global_load_dwordx2 v[54:55], v[32:33], off
	global_load_dwordx2 v[62:63], v[28:29], off
	s_nop 0
	global_load_dwordx2 v[32:33], v[40:41], off
	global_load_dwordx2 v[28:29], v[58:59], off
	v_subrev_u32_e32 v42, s6, v42
	v_ashrrev_i32_e32 v43, 31, v42
	v_lshlrev_b64 v[42:43], 3, v[42:43]
	v_add_co_u32_e32 v42, vcc, s22, v42
	v_addc_co_u32_e32 v43, vcc, v14, v43, vcc
	s_waitcnt vmcnt(2)
	v_add_f64 v[40:41], v[62:63], -v[54:55]
	v_mul_f64 v[40:41], v[40:41], s[0:1]
	s_waitcnt vmcnt(0)
	v_add_f64 v[58:59], v[32:33], -v[28:29]
	v_fma_f64 v[40:41], v[58:59], s[4:5], -v[40:41]
	global_load_dwordx2 v[58:59], v[60:61], off
	buffer_load_dword v18, off, s[28:31], 0 offset:148 ; 4-byte Folded Reload
	buffer_load_dword v19, off, s[28:31], 0 offset:152 ; 4-byte Folded Reload
	;; [unrolled: 1-line block ×4, first 2 shown]
	s_waitcnt vmcnt(2)
	v_mul_f64 v[58:59], v[18:19], v[58:59]
	s_waitcnt vmcnt(0)
	v_mul_f64 v[58:59], v[16:17], v[58:59]
	v_mul_f64 v[40:41], v[40:41], v[58:59]
	buffer_load_dword v58, off, s[28:31], 0 offset:160 ; 4-byte Folded Reload
	buffer_load_dword v59, off, s[28:31], 0 offset:164 ; 4-byte Folded Reload
	s_waitcnt vmcnt(0)
	v_mul_f64 v[58:59], v[58:59], v[40:41]
	global_load_dwordx2 v[40:41], v[42:43], off
	s_waitcnt vmcnt(0)
	v_mul_f64 v[68:69], v[18:19], v[40:41]
	global_load_dwordx2 v[42:43], v[36:37], off
	global_load_dwordx2 v[60:61], v[30:31], off
	;; [unrolled: 1-line block ×3, first 2 shown]
	s_nop 0
	global_load_dwordx2 v[36:37], v[66:67], off
	buffer_load_dword v104, off, s[28:31], 0 offset:200 ; 4-byte Folded Reload
	buffer_load_dword v105, off, s[28:31], 0 offset:204 ; 4-byte Folded Reload
	v_mul_f64 v[34:35], v[16:17], v[68:69]
	v_mov_b32_e32 v16, v49
	buffer_load_dword v49, off, s[28:31], 0 offset:44 ; 4-byte Folded Reload
	s_waitcnt vmcnt(5)
	v_add_f64 v[30:31], v[60:61], -v[42:43]
	v_mul_f64 v[30:31], v[30:31], s[0:1]
	s_waitcnt vmcnt(3)
	v_add_f64 v[66:67], v[40:41], -v[36:37]
	v_fma_f64 v[66:67], v[66:67], s[4:5], -v[30:31]
	s_waitcnt vmcnt(1)
	v_mul_f64 v[30:31], v[104:105], v[58:59]
	v_fmac_f64_e32 v[30:31], v[66:67], v[34:35]
	v_add3_u32 v34, v71, v16, s6
	v_ashrrev_i32_e32 v35, 31, v34
	v_lshlrev_b64 v[58:59], 3, v[34:35]
	v_add_co_u32_e32 v58, vcc, s16, v58
	v_addc_co_u32_e32 v59, vcc, v15, v59, vcc
	global_load_dwordx2 v[80:81], v[44:45], off
	global_load_dwordx2 v[72:73], v[50:51], off
	s_nop 0
	global_load_dwordx2 v[52:53], v[52:53], off
	s_nop 0
	global_load_dwordx2 v[44:45], v[58:59], off
	v_add_u32_e32 v34, s6, v34
	v_ashrrev_i32_e32 v35, 31, v34
	v_lshlrev_b64 v[34:35], 3, v[34:35]
	s_waitcnt vmcnt(4)
	v_add_u32_e32 v66, s7, v49
	v_add_co_u32_e32 v34, vcc, s16, v34
	v_ashrrev_i32_e32 v67, 31, v66
	v_addc_co_u32_e32 v35, vcc, v15, v35, vcc
	v_lshlrev_b64 v[68:69], 3, v[66:67]
	v_add_co_u32_e32 v68, vcc, s22, v68
	v_addc_co_u32_e32 v69, vcc, v14, v69, vcc
	v_subrev_u32_e32 v66, s6, v66
	v_ashrrev_i32_e32 v67, 31, v66
	v_lshlrev_b64 v[66:67], 3, v[66:67]
	v_add_co_u32_e32 v66, vcc, s22, v66
	v_addc_co_u32_e32 v67, vcc, v14, v67, vcc
	v_ashrrev_i32_e32 v49, 31, v48
	v_lshlrev_b64 v[48:49], 3, v[48:49]
	s_waitcnt vmcnt(2)
	v_add_f64 v[50:51], v[80:81], -v[72:73]
	v_mul_f64 v[50:51], v[50:51], s[0:1]
	s_waitcnt vmcnt(0)
	v_add_f64 v[58:59], v[52:53], -v[44:45]
	v_fma_f64 v[50:51], v[58:59], s[4:5], -v[50:51]
	global_load_dwordx2 v[58:59], v[68:69], off
	buffer_load_dword v74, off, s[28:31], 0 offset:60 ; 4-byte Folded Reload
	buffer_load_dword v75, off, s[28:31], 0 offset:64 ; 4-byte Folded Reload
	;; [unrolled: 1-line block ×4, first 2 shown]
	v_add_f64 v[32:33], v[32:33], -v[52:53]
	v_mul_f64 v[32:33], v[32:33], s[0:1]
	s_waitcnt vmcnt(2)
	v_mul_f64 v[58:59], v[74:75], v[58:59]
	s_waitcnt vmcnt(0)
	v_mul_f64 v[58:59], v[76:77], v[58:59]
	v_mul_f64 v[68:69], v[50:51], v[58:59]
	global_load_dwordx2 v[50:51], v[66:67], off
	s_waitcnt vmcnt(0)
	v_mul_f64 v[66:67], v[74:75], v[50:51]
	global_load_dwordx2 v[74:75], v[46:47], off
	global_load_dwordx2 v[58:59], v[56:57], off
	s_nop 0
	global_load_dwordx2 v[56:57], v[64:65], off
	global_load_dwordx2 v[50:51], v[34:35], off
	buffer_load_dword v108, off, s[28:31], 0 offset:68 ; 4-byte Folded Reload
	buffer_load_dword v109, off, s[28:31], 0 offset:72 ; 4-byte Folded Reload
	;; [unrolled: 1-line block ×4, first 2 shown]
	v_mul_f64 v[34:35], v[76:77], v[66:67]
	v_mov_b32_e32 v66, v70
	v_mov_b32_e32 v67, v78
	s_waitcnt vmcnt(7)
	v_add_f64 v[60:61], v[60:61], -v[74:75]
	s_waitcnt vmcnt(6)
	v_add_f64 v[46:47], v[74:75], -v[58:59]
	v_mul_f64 v[46:47], v[46:47], s[0:1]
	s_waitcnt vmcnt(4)
	v_add_f64 v[64:65], v[56:57], -v[50:51]
	v_fma_f64 v[64:65], v[64:65], s[4:5], -v[46:47]
	s_waitcnt vmcnt(2)
	v_mul_f64 v[46:47], v[108:109], v[68:69]
	v_mul_f64 v[46:47], v[104:105], v[46:47]
	v_fmac_f64_e32 v[46:47], v[64:65], v[34:35]
	v_add3_u32 v34, v66, v79, s6
	v_ashrrev_i32_e32 v35, 31, v34
	v_lshlrev_b64 v[64:65], 3, v[34:35]
	v_add_co_u32_e32 v82, vcc, s16, v64
	v_addc_co_u32_e32 v83, vcc, v15, v65, vcc
	v_add_u32_e32 v34, s6, v34
	v_add_co_u32_e32 v84, vcc, s16, v48
	v_ashrrev_i32_e32 v35, 31, v34
	v_addc_co_u32_e32 v85, vcc, v15, v49, vcc
	v_lshlrev_b64 v[34:35], 3, v[34:35]
	v_add_co_u32_e32 v88, vcc, s16, v34
	v_add3_u32 v34, v67, v90, s6
	v_addc_co_u32_e32 v89, vcc, v15, v35, vcc
	v_ashrrev_i32_e32 v35, 31, v34
	v_lshlrev_b64 v[48:49], 3, v[34:35]
	v_add_co_u32_e32 v86, vcc, s16, v48
	v_add3_u32 v48, v66, v90, s6
	v_addc_co_u32_e32 v87, vcc, v15, v49, vcc
	v_ashrrev_i32_e32 v49, 31, v48
	v_lshlrev_b64 v[64:65], 3, v[48:49]
	v_add_u32_e32 v34, s6, v34
	v_add_co_u32_e32 v90, vcc, s16, v64
	v_ashrrev_i32_e32 v35, 31, v34
	v_addc_co_u32_e32 v91, vcc, v15, v65, vcc
	v_lshlrev_b64 v[34:35], 3, v[34:35]
	v_add_co_u32_e32 v92, vcc, s16, v34
	v_add_u32_e32 v34, s6, v48
	v_addc_co_u32_e32 v93, vcc, v15, v35, vcc
	v_ashrrev_i32_e32 v35, 31, v34
	v_lshlrev_b64 v[34:35], 3, v[34:35]
	v_add_co_u32_e32 v94, vcc, s16, v34
	v_add3_u32 v34, v67, v16, s6
	v_addc_co_u32_e32 v95, vcc, v15, v35, vcc
	v_ashrrev_i32_e32 v35, 31, v34
	v_lshlrev_b64 v[48:49], 3, v[34:35]
	v_add_co_u32_e32 v96, vcc, s16, v48
	v_add3_u32 v48, v66, v16, s6
	v_addc_co_u32_e32 v97, vcc, v15, v49, vcc
	v_ashrrev_i32_e32 v49, 31, v48
	v_lshlrev_b64 v[64:65], 3, v[48:49]
	v_add_u32_e32 v34, s6, v34
	v_add_co_u32_e32 v98, vcc, s16, v64
	v_ashrrev_i32_e32 v35, 31, v34
	v_addc_co_u32_e32 v99, vcc, v15, v65, vcc
	v_lshlrev_b64 v[34:35], 3, v[34:35]
	v_add_co_u32_e32 v76, vcc, s16, v34
	v_add_u32_e32 v34, s6, v48
	v_addc_co_u32_e32 v77, vcc, v15, v35, vcc
	v_ashrrev_i32_e32 v35, 31, v34
	v_lshlrev_b64 v[34:35], 3, v[34:35]
	v_add_co_u32_e32 v78, vcc, s16, v34
	v_addc_co_u32_e32 v79, vcc, v15, v35, vcc
	buffer_load_dword v15, off, s[28:31], 0 offset:48 ; 4-byte Folded Reload
	v_pk_mov_b32 v[16:17], v[120:121], v[120:121] op_sel:[0,1]
	v_add_f64 v[42:43], v[42:43], -v[58:59]
	v_mul_f64 v[42:43], v[42:43], s[0:1]
	v_pk_mov_b32 v[18:19], v[122:123], v[122:123] op_sel:[0,1]
	s_waitcnt vmcnt(0)
	v_add_u32_e32 v34, s7, v15
	buffer_load_dword v15, off, s[28:31], 0 offset:24 ; 4-byte Folded Reload
	v_ashrrev_i32_e32 v35, 31, v34
	v_lshlrev_b64 v[48:49], 3, v[34:35]
	v_subrev_u32_e32 v34, s6, v34
	v_add_co_u32_e32 v64, vcc, s22, v48
	v_ashrrev_i32_e32 v35, 31, v34
	v_addc_co_u32_e32 v65, vcc, v14, v49, vcc
	v_lshlrev_b64 v[34:35], 3, v[34:35]
	v_add_co_u32_e32 v66, vcc, s22, v34
	v_addc_co_u32_e32 v67, vcc, v14, v35, vcc
	s_waitcnt vmcnt(0)
	v_add_u32_e32 v34, s7, v15
	v_ashrrev_i32_e32 v35, 31, v34
	v_lshlrev_b64 v[48:49], 3, v[34:35]
	v_subrev_u32_e32 v34, s6, v34
	v_add_co_u32_e32 v68, vcc, s22, v48
	v_ashrrev_i32_e32 v35, 31, v34
	v_addc_co_u32_e32 v69, vcc, v14, v49, vcc
	v_lshlrev_b64 v[34:35], 3, v[34:35]
	v_add_co_u32_e32 v70, vcc, s22, v34
	v_addc_co_u32_e32 v71, vcc, v14, v35, vcc
	buffer_load_dword v34, off, s[28:31], 0 ; 4-byte Folded Reload
	buffer_load_dword v35, off, s[28:31], 0 offset:4 ; 4-byte Folded Reload
	v_mov_b32_e32 v14, s3
	s_waitcnt vmcnt(1)
	v_add_co_u32_e32 v48, vcc, s2, v34
	s_waitcnt vmcnt(0)
	v_addc_co_u32_e32 v49, vcc, v14, v35, vcc
	v_add_f64 v[14:15], v[62:63], -v[80:81]
	global_load_dwordx2 v[62:63], v[12:13], off
	s_nop 0
	global_load_dwordx2 v[12:13], v[10:11], off
	v_mul_f64 v[10:11], v[14:15], s[0:1]
	s_waitcnt vmcnt(0)
	v_add_f64 v[14:15], v[62:63], -v[12:13]
	v_fma_f64 v[10:11], v[14:15], s[4:5], -v[10:11]
	v_mul_f64 v[26:27], v[26:27], v[10:11]
	buffer_load_dword v10, off, s[28:31], 0 offset:168 ; 4-byte Folded Reload
	buffer_load_dword v11, off, s[28:31], 0 offset:172 ; 4-byte Folded Reload
	;; [unrolled: 1-line block ×4, first 2 shown]
	s_waitcnt vmcnt(0)
	v_mul_f64 v[10:11], v[10:11], v[14:15]
	v_mul_f64 v[34:35], v[10:11], v[106:107]
	global_load_dwordx2 v[14:15], v[20:21], off
	global_load_dwordx2 v[10:11], v[22:23], off
	v_mul_f64 v[20:21], v[60:61], s[0:1]
	s_waitcnt vmcnt(0)
	v_add_f64 v[22:23], v[14:15], -v[10:11]
	v_fma_f64 v[20:21], v[22:23], s[4:5], -v[20:21]
	global_load_dwordx2 v[60:61], v[24:25], off
	global_load_dwordx2 v[22:23], v[82:83], off
	v_mul_f64 v[80:81], v[34:35], v[20:21]
	v_mul_f64 v[20:21], v[16:17], v[26:27]
	v_fmac_f64_e32 v[80:81], v[104:105], v[20:21]
	v_add_f64 v[20:21], v[54:55], -v[72:73]
	v_mul_f64 v[20:21], v[20:21], s[0:1]
	s_waitcnt vmcnt(0)
	v_add_f64 v[24:25], v[60:61], -v[22:23]
	v_fma_f64 v[100:101], v[24:25], s[4:5], -v[20:21]
	global_load_dwordx2 v[34:35], v[84:85], off
	global_load_dwordx2 v[20:21], v[88:89], off
	;; [unrolled: 1-line block ×9, first 2 shown]
	s_nop 0
	global_load_dwordx2 v[76:77], v[78:79], off
	global_load_dwordx2 v[26:27], v[64:65], off
	s_nop 0
	global_load_dwordx2 v[64:65], v[66:67], off
	s_nop 0
	;; [unrolled: 2-line block ×4, first 2 shown]
	buffer_load_dword v70, off, s[28:31], 0 offset:120 ; 4-byte Folded Reload
	buffer_load_dword v71, off, s[28:31], 0 offset:124 ; 4-byte Folded Reload
	;; [unrolled: 1-line block ×4, first 2 shown]
	v_mul_f64 v[8:9], v[8:9], v[100:101]
	v_mul_f64 v[8:9], v[16:17], v[8:9]
	s_waitcnt vmcnt(16)
	v_add_f64 v[58:59], v[34:35], -v[20:21]
	v_fma_f64 v[42:43], v[58:59], s[4:5], -v[42:43]
	v_add_f64 v[10:11], v[10:11], -v[20:21]
	v_mul_f64 v[10:11], v[10:11], s[0:1]
	s_waitcnt vmcnt(0)
	v_mul_f64 v[70:71], v[70:71], v[78:79]
	v_mul_f64 v[38:39], v[70:71], v[38:39]
	v_mul_f64 v[38:39], v[38:39], v[42:43]
	v_pk_mov_b32 v[42:43], v[104:105], v[104:105] op_sel:[0,1]
	v_fmac_f64_e32 v[38:39], v[42:43], v[8:9]
	v_add_f64 v[8:9], v[80:81], -v[38:39]
	v_add_f64 v[38:39], v[82:83], -v[54:55]
	v_fma_f64 v[32:33], v[38:39], s[4:5], -v[32:33]
	global_load_dwordx2 v[70:71], v[48:49], off
	v_mul_f64 v[6:7], v[6:7], v[32:33]
	buffer_load_dword v32, off, s[28:31], 0 offset:104 ; 4-byte Folded Reload
	buffer_load_dword v33, off, s[28:31], 0 offset:108 ; 4-byte Folded Reload
	buffer_load_dword v38, off, s[28:31], 0 offset:112 ; 4-byte Folded Reload
	buffer_load_dword v39, off, s[28:31], 0 offset:116 ; 4-byte Folded Reload
	v_mul_f64 v[6:7], v[16:17], v[6:7]
	s_waitcnt vmcnt(0)
	v_mul_f64 v[32:33], v[32:33], v[38:39]
	v_mul_f64 v[0:1], v[32:33], v[0:1]
	v_add_f64 v[32:33], v[40:41], -v[56:57]
	v_mul_f64 v[32:33], v[32:33], s[0:1]
	v_add_f64 v[38:39], v[74:75], -v[24:25]
	v_fma_f64 v[32:33], v[38:39], s[4:5], -v[32:33]
	v_mul_f64 v[0:1], v[0:1], v[32:33]
	v_pk_mov_b32 v[38:39], v[104:105], v[104:105] op_sel:[0,1]
	v_fmac_f64_e32 v[0:1], v[38:39], v[6:7]
	v_add_f64 v[6:7], v[28:29], -v[44:45]
	v_mul_f64 v[6:7], v[6:7], s[0:1]
	v_add_f64 v[28:29], v[84:85], -v[72:73]
	v_fma_f64 v[6:7], v[28:29], s[4:5], -v[6:7]
	v_mul_f64 v[4:5], v[4:5], v[6:7]
	buffer_load_dword v6, off, s[28:31], 0 offset:84 ; 4-byte Folded Reload
	buffer_load_dword v7, off, s[28:31], 0 offset:88 ; 4-byte Folded Reload
	;; [unrolled: 1-line block ×4, first 2 shown]
	v_add_f64 v[32:33], v[86:87], -v[76:77]
	v_mul_f64 v[4:5], v[16:17], v[4:5]
	s_waitcnt vmcnt(0)
	v_mul_f64 v[6:7], v[6:7], v[28:29]
	v_add_f64 v[28:29], v[36:37], -v[50:51]
	v_mul_f64 v[28:29], v[28:29], s[0:1]
	v_mul_f64 v[6:7], v[6:7], v[102:103]
	v_fma_f64 v[28:29], v[32:33], s[4:5], -v[28:29]
	v_mul_f64 v[6:7], v[6:7], v[28:29]
	v_fmac_f64_e32 v[6:7], v[38:39], v[4:5]
	v_mul_f64 v[4:5], v[8:9], s[0:1]
	buffer_load_dword v8, off, s[28:31], 0 offset:28 ; 4-byte Folded Reload
	buffer_load_dword v9, off, s[28:31], 0 offset:32 ; 4-byte Folded Reload
	;; [unrolled: 1-line block ×4, first 2 shown]
	v_add_f64 v[0:1], v[0:1], -v[6:7]
	v_fma_f64 v[0:1], v[0:1], s[4:5], -v[4:5]
	v_add_f64 v[4:5], v[62:63], -v[60:61]
	v_add_f64 v[6:7], v[82:83], -v[84:85]
	v_mul_f64 v[4:5], v[4:5], s[0:1]
	v_fma_f64 v[4:5], v[6:7], s[4:5], -v[4:5]
	v_add_f64 v[0:1], v[2:3], v[0:1]
	v_add_f64 v[2:3], v[30:31], -v[46:47]
	v_mul_f64 v[2:3], v[2:3], s[0:1]
	s_waitcnt vmcnt(2)
	v_mul_f64 v[6:7], v[8:9], v[26:27]
	s_waitcnt vmcnt(0)
	v_mul_f64 v[6:7], v[16:17], v[6:7]
	v_mul_f64 v[4:5], v[4:5], v[6:7]
	;; [unrolled: 1-line block ×3, first 2 shown]
	v_add_f64 v[8:9], v[14:15], -v[34:35]
	v_mul_f64 v[8:9], v[8:9], s[0:1]
	v_add_f64 v[14:15], v[74:75], -v[86:87]
	v_fma_f64 v[8:9], v[14:15], s[4:5], -v[8:9]
	buffer_load_dword v14, off, s[28:31], 0 offset:8 ; 4-byte Folded Reload
	buffer_load_dword v15, off, s[28:31], 0 offset:12 ; 4-byte Folded Reload
	v_mul_f64 v[6:7], v[16:17], v[6:7]
	buffer_load_dword v16, off, s[28:31], 0 offset:16 ; 4-byte Folded Reload
	buffer_load_dword v17, off, s[28:31], 0 offset:20 ; 4-byte Folded Reload
	v_mul_f64 v[4:5], v[18:19], v[4:5]
	v_mul_f64 v[4:5], v[38:39], v[4:5]
	v_fmac_f64_e32 v[4:5], v[8:9], v[6:7]
	v_add_f64 v[8:9], v[12:13], -v[22:23]
	v_mul_f64 v[8:9], v[8:9], s[0:1]
	v_add_f64 v[12:13], v[54:55], -v[72:73]
	v_fma_f64 v[8:9], v[12:13], s[4:5], -v[8:9]
	v_add_f64 v[12:13], v[24:25], -v[76:77]
	v_fma_f64 v[10:11], v[12:13], s[4:5], -v[10:11]
	s_waitcnt vmcnt(2)
	v_mul_f64 v[6:7], v[14:15], v[66:67]
	s_waitcnt vmcnt(0)
	v_mul_f64 v[6:7], v[16:17], v[6:7]
	v_mul_f64 v[6:7], v[8:9], v[6:7]
	;; [unrolled: 1-line block ×6, first 2 shown]
	v_fmac_f64_e32 v[6:7], v[10:11], v[8:9]
	v_add_f64 v[4:5], v[4:5], -v[6:7]
	v_fma_f64 v[2:3], v[4:5], s[4:5], -v[2:3]
	v_add_f64 v[0:1], v[0:1], v[2:3]
	buffer_load_dword v2, off, s[28:31], 0 offset:208 ; 4-byte Folded Reload
	buffer_load_dword v3, off, s[28:31], 0 offset:212 ; 4-byte Folded Reload
	v_mul_f64 v[0:1], v[0:1], s[14:15]
	s_waitcnt vmcnt(0)
	v_mul_f64 v[0:1], v[2:3], v[0:1]
	v_fmac_f64_e32 v[0:1], s[12:13], v[70:71]
	global_store_dwordx2 v[48:49], v[0:1], off
.LBB1_2:
	s_endpgm
	.section	.rodata,"a",@progbits
	.p2align	6, 0x0
	.amdhsa_kernel _Z7kernel2iiiiiiiiiiiiddPKdS0_S0_S0_S0_PdS0_S0_S0_S0_S0_S0_S0_
		.amdhsa_group_segment_fixed_size 0
		.amdhsa_private_segment_fixed_size 836
		.amdhsa_kernarg_size 424
		.amdhsa_user_sgpr_count 6
		.amdhsa_user_sgpr_private_segment_buffer 1
		.amdhsa_user_sgpr_dispatch_ptr 0
		.amdhsa_user_sgpr_queue_ptr 0
		.amdhsa_user_sgpr_kernarg_segment_ptr 1
		.amdhsa_user_sgpr_dispatch_id 0
		.amdhsa_user_sgpr_flat_scratch_init 0
		.amdhsa_user_sgpr_kernarg_preload_length 0
		.amdhsa_user_sgpr_kernarg_preload_offset 0
		.amdhsa_user_sgpr_private_segment_size 0
		.amdhsa_uses_dynamic_stack 0
		.amdhsa_system_sgpr_private_segment_wavefront_offset 1
		.amdhsa_system_sgpr_workgroup_id_x 1
		.amdhsa_system_sgpr_workgroup_id_y 1
		.amdhsa_system_sgpr_workgroup_id_z 1
		.amdhsa_system_sgpr_workgroup_info 0
		.amdhsa_system_vgpr_workitem_id 2
		.amdhsa_next_free_vgpr 128
		.amdhsa_next_free_sgpr 32
		.amdhsa_accum_offset 128
		.amdhsa_reserve_vcc 1
		.amdhsa_reserve_flat_scratch 0
		.amdhsa_float_round_mode_32 0
		.amdhsa_float_round_mode_16_64 0
		.amdhsa_float_denorm_mode_32 3
		.amdhsa_float_denorm_mode_16_64 3
		.amdhsa_dx10_clamp 1
		.amdhsa_ieee_mode 1
		.amdhsa_fp16_overflow 0
		.amdhsa_tg_split 0
		.amdhsa_exception_fp_ieee_invalid_op 0
		.amdhsa_exception_fp_denorm_src 0
		.amdhsa_exception_fp_ieee_div_zero 0
		.amdhsa_exception_fp_ieee_overflow 0
		.amdhsa_exception_fp_ieee_underflow 0
		.amdhsa_exception_fp_ieee_inexact 0
		.amdhsa_exception_int_div_zero 0
	.end_amdhsa_kernel
	.text
.Lfunc_end1:
	.size	_Z7kernel2iiiiiiiiiiiiddPKdS0_S0_S0_S0_PdS0_S0_S0_S0_S0_S0_S0_, .Lfunc_end1-_Z7kernel2iiiiiiiiiiiiddPKdS0_S0_S0_S0_PdS0_S0_S0_S0_S0_S0_S0_
                                        ; -- End function
	.section	.AMDGPU.csdata,"",@progbits
; Kernel info:
; codeLenInByte = 14216
; NumSgprs: 36
; NumVgprs: 128
; NumAgprs: 0
; TotalNumVgprs: 128
; ScratchSize: 836
; MemoryBound: 0
; FloatMode: 240
; IeeeMode: 1
; LDSByteSize: 0 bytes/workgroup (compile time only)
; SGPRBlocks: 4
; VGPRBlocks: 15
; NumSGPRsForWavesPerEU: 36
; NumVGPRsForWavesPerEU: 128
; AccumOffset: 128
; Occupancy: 4
; WaveLimiterHint : 0
; COMPUTE_PGM_RSRC2:SCRATCH_EN: 1
; COMPUTE_PGM_RSRC2:USER_SGPR: 6
; COMPUTE_PGM_RSRC2:TRAP_HANDLER: 0
; COMPUTE_PGM_RSRC2:TGID_X_EN: 1
; COMPUTE_PGM_RSRC2:TGID_Y_EN: 1
; COMPUTE_PGM_RSRC2:TGID_Z_EN: 1
; COMPUTE_PGM_RSRC2:TIDIG_COMP_CNT: 2
; COMPUTE_PGM_RSRC3_GFX90A:ACCUM_OFFSET: 31
; COMPUTE_PGM_RSRC3_GFX90A:TG_SPLIT: 0
	.text
	.protected	_Z7kernel3iiiiiiiiiiiiddPKdS0_S0_S0_S0_PdS0_S0_S0_S0_S0_S0_S0_ ; -- Begin function _Z7kernel3iiiiiiiiiiiiddPKdS0_S0_S0_S0_PdS0_S0_S0_S0_S0_S0_S0_
	.globl	_Z7kernel3iiiiiiiiiiiiddPKdS0_S0_S0_S0_PdS0_S0_S0_S0_S0_S0_S0_
	.p2align	8
	.type	_Z7kernel3iiiiiiiiiiiiddPKdS0_S0_S0_S0_PdS0_S0_S0_S0_S0_S0_S0_,@function
_Z7kernel3iiiiiiiiiiiiddPKdS0_S0_S0_S0_PdS0_S0_S0_S0_S0_S0_S0_: ; @_Z7kernel3iiiiiiiiiiiiddPKdS0_S0_S0_S0_PdS0_S0_S0_S0_S0_S0_S0_
; %bb.0:
	s_mov_b64 s[38:39], s[2:3]
	s_mov_b64 s[36:37], s[0:1]
	s_load_dwordx2 s[0:1], s[4:5], 0xb4
	s_load_dwordx8 s[12:19], s[4:5], 0x0
	s_add_u32 s36, s36, s9
	s_addc_u32 s37, s37, 0
	v_and_b32_e32 v1, 0x3ff, v0
	s_waitcnt lgkmcnt(0)
	s_lshr_b32 s2, s0, 16
	s_and_b32 s0, s0, 0xffff
	s_mul_i32 s0, s6, s0
	s_add_i32 s0, s0, s12
	v_add_u32_e32 v4, s0, v1
	s_mul_i32 s0, s7, s2
	s_and_b32 s1, s1, 0xffff
	s_add_i32 s0, s0, s14
	v_bfe_u32 v1, v0, 10, 10
	v_add_u32_e32 v12, s0, v1
	s_mul_i32 s0, s8, s1
	s_add_i32 s0, s0, s16
	v_bfe_u32 v0, v0, 20, 10
	v_add_u32_e32 v10, s0, v0
	v_cmp_gt_i32_e32 vcc, s13, v4
	v_cmp_gt_i32_e64 s[0:1], s15, v12
	s_and_b64 s[0:1], vcc, s[0:1]
	v_cmp_gt_i32_e32 vcc, s17, v10
	s_and_b64 s[0:1], s[0:1], vcc
	s_and_saveexec_b64 s[2:3], s[0:1]
	s_cbranch_execz .LBB2_2
; %bb.1:
	s_load_dwordx4 s[0:3], s[4:5], 0x98
	s_load_dwordx4 s[24:27], s[4:5], 0x60
	s_load_dwordx8 s[8:15], s[4:5], 0x20
	v_subrev_u32_e32 v0, s18, v4
	v_ashrrev_i32_e32 v1, 31, v0
	v_lshlrev_b64 v[0:1], 3, v[0:1]
	s_sub_i32 s28, s19, s18
	s_waitcnt lgkmcnt(0)
	v_mov_b32_e32 v3, s1
	v_add_co_u32_e32 v2, vcc, s0, v0
	s_not_b32 s0, s28
	s_sub_i32 s1, s9, s8
	v_subrev_u32_e32 v0, s8, v12
	s_add_i32 s28, s28, 1
	s_mul_i32 s0, s0, s8
	s_add_i32 s8, s1, 1
	s_mul_i32 s8, s8, s28
	s_mul_i32 s1, s8, s10
	s_add_i32 s1, s1, s18
	s_sub_i32 s0, s0, s1
	v_mul_lo_u32 v13, v12, s28
	v_mul_lo_u32 v33, v10, s8
	s_load_dwordx8 s[16:23], s[4:5], 0x40
	v_add_u32_e32 v14, -2, v4
	v_add3_u32 v30, v33, v13, s0
	buffer_store_dword v14, off, s[36:39], 0 offset:300 ; 4-byte Folded Spill
	v_add_u32_e32 v14, v30, v14
	v_addc_co_u32_e32 v3, vcc, v3, v1, vcc
	v_ashrrev_i32_e32 v1, 31, v0
	v_ashrrev_i32_e32 v15, 31, v14
	v_lshlrev_b64 v[0:1], 3, v[0:1]
	v_lshlrev_b64 v[14:15], 3, v[14:15]
	v_mov_b32_e32 v5, s3
	v_add_co_u32_e32 v0, vcc, s2, v0
	s_waitcnt lgkmcnt(0)
	v_mov_b32_e32 v58, s19
	v_add_co_u32_e64 v14, s[2:3], s18, v14
	v_addc_co_u32_e64 v15, s[2:3], v58, v15, s[2:3]
	global_load_dwordx2 v[34:35], v[14:15], off
	v_add_u32_e32 v11, s0, v4
	v_addc_co_u32_e32 v1, vcc, v5, v1, vcc
	v_add_u32_e32 v5, v13, v11
	v_add_u32_e32 v6, v5, v33
	v_ashrrev_i32_e32 v7, 31, v6
	v_lshlrev_b64 v[8:9], 3, v[6:7]
	v_mov_b32_e32 v7, s25
	v_add_co_u32_e32 v6, vcc, s24, v8
	global_load_dwordx4 v[118:121], v[2:3], off
	global_load_dwordx4 v[124:127], v[0:1], off
	v_addc_co_u32_e32 v7, vcc, v7, v9, vcc
	s_sub_i32 s1, s11, s10
	global_load_dwordx2 v[6:7], v[6:7], off
	s_add_i32 s6, s1, 1
	s_mul_i32 s6, s6, s8
	s_sub_i32 s7, s0, s6
	s_ashr_i32 s0, s7, 31
	v_ashrrev_i32_e32 v18, 31, v4
	s_ashr_i32 s1, s6, 31
	v_add_co_u32_e32 v17, vcc, s7, v4
	v_mov_b32_e32 v20, s0
	v_ashrrev_i32_e32 v19, 31, v13
	v_mov_b32_e32 v22, s1
	v_add_co_u32_e64 v23, s[0:1], v17, v13
	v_addc_co_u32_e32 v18, vcc, v18, v20, vcc
	v_add_u32_e32 v16, -1, v4
	v_ashrrev_i32_e32 v21, 31, v33
	v_add_co_u32_e32 v20, vcc, v23, v33
	v_addc_co_u32_e64 v18, s[0:1], v18, v19, s[0:1]
	buffer_store_dword v16, off, s[36:39], 0 offset:292 ; 4-byte Folded Spill
	v_add_u32_e32 v16, v30, v16
	v_add_co_u32_e64 v20, s[0:1], s6, v20
	v_addc_co_u32_e32 v18, vcc, v18, v21, vcc
	v_ashrrev_i32_e32 v17, 31, v16
	v_addc_co_u32_e64 v21, vcc, v18, v22, s[0:1]
	v_lshlrev_b64 v[16:17], 3, v[16:17]
	v_lshlrev_b64 v[14:15], 3, v[20:21]
	v_mov_b32_e32 v122, s23
	v_add_co_u32_e64 v16, s[4:5], s18, v16
	v_add_co_u32_e32 v14, vcc, s22, v14
	v_addc_co_u32_e32 v15, vcc, v122, v15, vcc
	v_addc_co_u32_e64 v17, vcc, v58, v17, s[4:5]
	s_waitcnt vmcnt(4)
	buffer_store_dword v34, off, s[36:39], 0 offset:384 ; 4-byte Folded Spill
	s_nop 0
	buffer_store_dword v35, off, s[36:39], 0 offset:388 ; 4-byte Folded Spill
	global_load_dwordx2 v[42:43], v[16:17], off
	global_load_dwordx4 v[54:57], v[14:15], off offset:-16
                                        ; kill: killed $vgpr16 killed $vgpr17
	v_mov_b32_e32 v32, s17
	v_mov_b32_e32 v45, s21
	s_mul_i32 s4, s6, 3
	s_waitcnt vmcnt(1)
	buffer_store_dword v42, off, s[36:39], 0 offset:168 ; 4-byte Folded Spill
	s_nop 0
	buffer_store_dword v43, off, s[36:39], 0 offset:172 ; 4-byte Folded Spill
	v_mul_f64 v[14:15], v[118:119], v[124:125]
	v_div_scale_f64 v[20:21], s[0:1], v[6:7], v[6:7], v[14:15]
	v_rcp_f64_e32 v[22:23], v[20:21]
	global_load_dwordx4 v[66:69], v[2:3], off offset:-16
	v_div_scale_f64 v[26:27], s[0:1], v[124:125], v[124:125], 1.0
	v_fma_f64 v[16:17], -v[20:21], v[22:23], 1.0
	v_fmac_f64_e32 v[22:23], v[22:23], v[16:17]
	v_fma_f64 v[16:17], -v[20:21], v[22:23], 1.0
	v_fmac_f64_e32 v[22:23], v[22:23], v[16:17]
	v_div_scale_f64 v[16:17], vcc, v[14:15], v[6:7], v[14:15]
	v_mul_f64 v[24:25], v[16:17], v[22:23]
	v_fma_f64 v[16:17], -v[20:21], v[24:25], v[16:17]
	v_add_u32_e32 v21, s7, v4
	s_nop 0
	v_div_fmas_f64 v[16:17], v[16:17], v[22:23], v[24:25]
	v_div_fixup_f64 v[6:7], v[16:17], v[6:7], v[14:15]
	v_add_co_u32_e32 v14, vcc, s18, v8
	buffer_store_dword v6, off, s[36:39], 0 offset:88 ; 4-byte Folded Spill
	s_nop 0
	buffer_store_dword v7, off, s[36:39], 0 offset:92 ; 4-byte Folded Spill
	v_addc_co_u32_e32 v15, vcc, v58, v9, vcc
	global_load_dwordx2 v[50:51], v[14:15], off
	v_add_u32_e32 v14, 1, v4
	buffer_store_dword v14, off, s[36:39], 0 offset:308 ; 4-byte Folded Spill
	v_add_u32_e32 v14, v30, v14
	v_ashrrev_i32_e32 v15, 31, v14
	v_add_u32_e32 v16, 2, v4
	v_lshlrev_b64 v[14:15], 3, v[14:15]
	buffer_store_dword v16, off, s[36:39], 0 offset:364 ; 4-byte Folded Spill
	v_add_u32_e32 v16, v30, v16
	v_add_u32_e32 v44, v13, v21
	v_add_co_u32_e32 v14, vcc, s18, v14
	v_ashrrev_i32_e32 v17, 31, v16
	v_add_u32_e32 v86, v44, v33
	v_addc_co_u32_e32 v15, vcc, v58, v15, vcc
	v_lshlrev_b64 v[16:17], 3, v[16:17]
	v_add_u32_e32 v22, s6, v86
	v_add_co_u32_e32 v16, vcc, s18, v16
	v_ashrrev_i32_e32 v23, 31, v22
	v_addc_co_u32_e32 v17, vcc, v58, v17, vcc
	v_lshlrev_b64 v[84:85], 3, v[22:23]
	v_add_co_u32_e32 v24, vcc, s22, v84
	v_addc_co_u32_e32 v25, vcc, v122, v85, vcc
	global_load_dwordx4 v[70:73], v[24:25], off
	global_load_dwordx2 v[30:31], v[14:15], off
	s_lshl_b32 s0, s6, 1
	s_ashr_i32 s1, s0, 31
	v_ashrrev_i32_e32 v4, 31, v86
	v_mov_b32_e32 v13, s1
	v_add_co_u32_e32 v14, vcc, s0, v86
	v_addc_co_u32_e32 v15, vcc, v4, v13, vcc
	v_lshlrev_b64 v[14:15], 3, v[14:15]
	v_add_co_u32_e32 v14, vcc, s16, v14
	v_addc_co_u32_e32 v15, vcc, v32, v15, vcc
	v_rcp_f64_e32 v[28:29], v[26:27]
	s_mov_b32 s1, 0x3fc55555
	s_waitcnt vmcnt(0)
	buffer_store_dword v30, off, s[36:39], 0 offset:188 ; 4-byte Folded Spill
	s_nop 0
	buffer_store_dword v31, off, s[36:39], 0 offset:192 ; 4-byte Folded Spill
	global_load_dwordx2 v[60:61], v[16:17], off
	v_add_u32_e32 v16, s6, v22
	v_ashrrev_i32_e32 v17, 31, v16
	v_lshlrev_b64 v[18:19], 3, v[16:17]
	v_add_co_u32_e32 v16, vcc, s16, v18
	v_addc_co_u32_e32 v17, vcc, v32, v19, vcc
	v_pk_mov_b32 v[52:53], v[18:19], v[18:19] op_sel:[0,1]
	v_fma_f64 v[6:7], -v[26:27], v[28:29], 1.0
	v_fmac_f64_e32 v[28:29], v[28:29], v[6:7]
	v_fma_f64 v[6:7], -v[26:27], v[28:29], 1.0
	v_fmac_f64_e32 v[28:29], v[28:29], v[6:7]
	s_waitcnt vmcnt(0)
	buffer_store_dword v60, off, s[36:39], 0 offset:504 ; 4-byte Folded Spill
	s_nop 0
	buffer_store_dword v61, off, s[36:39], 0 offset:508 ; 4-byte Folded Spill
	global_load_dwordx4 v[62:65], v[16:17], off offset:-8
	s_nop 0
	global_load_dwordx2 v[14:15], v[14:15], off offset:-16
	s_nop 0
	global_load_dwordx2 v[76:77], v[24:25], off offset:16
	global_load_dwordx2 v[74:75], v[2:3], off offset:16
	s_nop 0
	global_load_dwordx4 v[22:25], v[16:17], off offset:8
	v_add_u32_e32 v2, -2, v12
	v_mul_lo_u32 v18, v2, s28
	v_add3_u32 v2, v33, v18, v11
	v_ashrrev_i32_e32 v3, 31, v2
	v_add_u32_e32 v4, v18, v21
	buffer_store_dword v18, off, s[36:39], 0 offset:376 ; 4-byte Folded Spill
	v_lshlrev_b64 v[2:3], 3, v[2:3]
	buffer_store_dword v4, off, s[36:39], 0 offset:148 ; 4-byte Folded Spill
	v_add_u32_e32 v4, v4, v33
	v_add_u32_e32 v18, s28, v18
	v_add_co_u32_e32 v12, vcc, s18, v2
	v_add_u32_e32 v16, s6, v4
	v_mov_b32_e32 v20, v4
	v_add_u32_e32 v4, v18, v21
	v_mov_b32_e32 v59, v18
	v_addc_co_u32_e32 v13, vcc, v58, v3, vcc
	buffer_store_dword v20, off, s[36:39], 0 offset:228 ; 4-byte Folded Spill
	buffer_store_dword v59, off, s[36:39], 0 offset:512 ; 4-byte Folded Spill
	;; [unrolled: 1-line block ×3, first 2 shown]
	v_add_u32_e32 v4, v4, v33
	v_add_co_u32_e32 v2, vcc, s20, v2
	buffer_store_dword v4, off, s[36:39], 0 offset:116 ; 4-byte Folded Spill
	v_addc_co_u32_e32 v3, vcc, v45, v3, vcc
	global_load_dwordx2 v[46:47], v[12:13], off
	global_load_dwordx2 v[48:49], v[2:3], off
	v_ashrrev_i32_e32 v17, 31, v16
	v_lshlrev_b64 v[16:17], 3, v[16:17]
	v_add3_u32 v36, v33, v18, v11
	v_add_co_u32_e32 v16, vcc, s22, v16
	v_ashrrev_i32_e32 v37, 31, v36
	v_addc_co_u32_e32 v17, vcc, v122, v17, vcc
	v_lshlrev_b64 v[36:37], 3, v[36:37]
	v_add_co_u32_e32 v38, vcc, s18, v36
	v_addc_co_u32_e32 v39, vcc, v58, v37, vcc
	v_add_co_u32_e32 v36, vcc, s20, v36
	s_waitcnt vmcnt(0)
	buffer_store_dword v48, off, s[36:39], 0 offset:24 ; 4-byte Folded Spill
	s_nop 0
	buffer_store_dword v49, off, s[36:39], 0 offset:28 ; 4-byte Folded Spill
	v_addc_co_u32_e32 v37, vcc, v45, v37, vcc
	global_load_dwordx2 v[78:79], v[16:17], off
	global_load_dwordx2 v[2:3], v[38:39], off
	;; [unrolled: 1-line block ×3, first 2 shown]
	v_add_u32_e32 v40, s6, v4
	v_ashrrev_i32_e32 v41, 31, v40
	v_lshlrev_b64 v[40:41], 3, v[40:41]
	v_add_co_u32_e32 v40, vcc, s22, v40
	v_addc_co_u32_e32 v41, vcc, v122, v41, vcc
	v_add_co_u32_e32 v8, vcc, s20, v8
	v_addc_co_u32_e32 v9, vcc, v45, v9, vcc
	s_waitcnt vmcnt(0)
	buffer_store_dword v18, off, s[36:39], 0 ; 4-byte Folded Spill
	s_nop 0
	buffer_store_dword v19, off, s[36:39], 0 offset:4 ; 4-byte Folded Spill
	v_div_scale_f64 v[6:7], vcc, 1.0, v[124:125], 1.0
	v_div_scale_f64 v[12:13], s[2:3], v[118:119], v[118:119], 1.0
	global_load_dwordx2 v[16:17], v[8:9], off
	v_mul_f64 v[8:9], v[6:7], v[28:29]
	v_rcp_f64_e32 v[36:37], v[12:13]
	v_fma_f64 v[6:7], -v[26:27], v[8:9], v[6:7]
	v_div_fmas_f64 v[6:7], v[6:7], v[28:29], v[8:9]
	global_load_dwordx2 v[38:39], v[40:41], off
	s_nop 0
	buffer_store_dword v6, off, s[36:39], 0 offset:520 ; 4-byte Folded Spill
	s_nop 0
	buffer_store_dword v7, off, s[36:39], 0 offset:524 ; 4-byte Folded Spill
	v_fma_f64 v[6:7], -v[12:13], v[36:37], 1.0
	v_fmac_f64_e32 v[36:37], v[36:37], v[6:7]
	v_fma_f64 v[6:7], -v[12:13], v[36:37], 1.0
	v_fmac_f64_e32 v[36:37], v[36:37], v[6:7]
	v_div_scale_f64 v[6:7], vcc, 1.0, v[118:119], 1.0
	v_mul_f64 v[8:9], v[6:7], v[36:37]
	v_fma_f64 v[6:7], -v[12:13], v[8:9], v[6:7]
	v_add_f64 v[14:15], v[14:15], -v[64:65]
	s_nop 0
	v_div_fmas_f64 v[6:7], v[6:7], v[36:37], v[8:9]
	buffer_store_dword v6, off, s[36:39], 0 offset:528 ; 4-byte Folded Spill
	s_nop 0
	buffer_store_dword v7, off, s[36:39], 0 offset:532 ; 4-byte Folded Spill
	buffer_store_dword v54, off, s[36:39], 0 offset:392 ; 4-byte Folded Spill
	s_nop 0
	buffer_store_dword v55, off, s[36:39], 0 offset:396 ; 4-byte Folded Spill
	buffer_store_dword v56, off, s[36:39], 0 offset:400 ; 4-byte Folded Spill
	;; [unrolled: 1-line block ×3, first 2 shown]
	s_mov_b32 s3, 0x3fe55555
	v_fma_f64 v[2:3], 2.0, v[2:3], v[18:19]
	v_mul_f64 v[6:7], v[34:35], v[54:55]
	v_mul_f64 v[36:37], v[54:55], v[6:7]
	;; [unrolled: 1-line block ×4, first 2 shown]
	buffer_store_dword v34, off, s[36:39], 0 offset:324 ; 4-byte Folded Spill
	s_nop 0
	buffer_store_dword v35, off, s[36:39], 0 offset:328 ; 4-byte Folded Spill
	buffer_store_dword v66, off, s[36:39], 0 offset:196 ; 4-byte Folded Spill
	s_nop 0
	buffer_store_dword v67, off, s[36:39], 0 offset:200 ; 4-byte Folded Spill
	buffer_store_dword v68, off, s[36:39], 0 offset:204 ; 4-byte Folded Spill
	;; [unrolled: 1-line block ×4, first 2 shown]
	s_nop 0
	buffer_store_dword v37, off, s[36:39], 0 offset:320 ; 4-byte Folded Spill
	v_mul_f64 v[6:7], v[50:51], v[70:71]
	v_mul_f64 v[6:7], v[70:71], v[6:7]
	;; [unrolled: 1-line block ×4, first 2 shown]
	v_pk_mov_b32 v[26:27], v[8:9], v[8:9] op_sel:[0,1]
	v_fma_f64 v[12:13], v[66:67], v[36:37], v[6:7]
	v_fmac_f64_e32 v[26:27], 0xbfe80000, v[12:13]
	v_mul_f64 v[12:13], v[30:31], v[72:73]
	v_mul_f64 v[28:29], v[72:73], v[12:13]
	v_pk_mov_b32 v[40:41], v[28:29], v[28:29] op_sel:[0,1]
	buffer_store_dword v40, off, s[36:39], 0 offset:340 ; 4-byte Folded Spill
	s_nop 0
	buffer_store_dword v41, off, s[36:39], 0 offset:344 ; 4-byte Folded Spill
	buffer_store_dword v76, off, s[36:39], 0 offset:496 ; 4-byte Folded Spill
	s_nop 0
	buffer_store_dword v77, off, s[36:39], 0 offset:500 ; 4-byte Folded Spill
	v_mul_f64 v[12:13], v[120:121], v[28:29]
	v_fma_f64 v[28:29], v[66:67], v[36:37], v[12:13]
	v_fma_f64 v[36:37], v[68:69], v[34:35], v[6:7]
	v_fmac_f64_e32 v[28:29], 0x40080000, v[36:37]
	v_add_f64 v[30:31], v[62:63], -v[64:65]
	v_mul_f64 v[80:81], v[28:29], v[30:31]
	v_fmac_f64_e32 v[80:81], v[26:27], v[14:15]
	v_mul_f64 v[14:15], v[60:61], v[76:77]
	v_mul_f64 v[26:27], v[76:77], v[14:15]
	buffer_store_dword v26, off, s[36:39], 0 offset:356 ; 4-byte Folded Spill
	s_nop 0
	buffer_store_dword v27, off, s[36:39], 0 offset:360 ; 4-byte Folded Spill
	buffer_store_dword v74, off, s[36:39], 0 offset:488 ; 4-byte Folded Spill
	s_nop 0
	buffer_store_dword v75, off, s[36:39], 0 offset:492 ; 4-byte Folded Spill
	v_fma_f64 v[14:15], v[120:121], v[40:41], v[6:7]
	v_fmac_f64_e32 v[8:9], v[74:75], v[26:27]
	v_fmac_f64_e32 v[8:9], 0x40080000, v[14:15]
	v_add_f64 v[14:15], v[22:23], -v[64:65]
	v_fmac_f64_e32 v[6:7], v[74:75], v[26:27]
	v_fmac_f64_e32 v[80:81], v[8:9], v[14:15]
	;; [unrolled: 1-line block ×3, first 2 shown]
	v_add_f64 v[6:7], v[24:25], -v[64:65]
	v_lshl_add_u32 v8, s28, 1, v59
	v_fmac_f64_e32 v[80:81], v[12:13], v[6:7]
	v_add3_u32 v6, v33, v8, v11
	v_ashrrev_i32_e32 v7, 31, v6
	v_lshlrev_b64 v[6:7], 3, v[6:7]
	v_add_co_u32_e32 v40, vcc, s18, v6
	v_addc_co_u32_e32 v41, vcc, v58, v7, vcc
	v_add_co_u32_e32 v42, vcc, s20, v6
	v_add_u32_e32 v6, v8, v21
	v_mov_b32_e32 v28, v8
	buffer_store_dword v28, off, s[36:39], 0 offset:536 ; 4-byte Folded Spill
	buffer_store_dword v6, off, s[36:39], 0 offset:176 ; 4-byte Folded Spill
	v_add_u32_e32 v6, v6, v33
	v_add_u32_e32 v12, s6, v6
	v_ashrrev_i32_e32 v13, 31, v12
	v_addc_co_u32_e32 v43, vcc, v45, v7, vcc
	buffer_store_dword v6, off, s[36:39], 0 offset:104 ; 4-byte Folded Spill
	v_lshlrev_b64 v[6:7], 3, v[12:13]
	v_add_co_u32_e32 v14, vcc, s22, v6
	v_addc_co_u32_e32 v15, vcc, v122, v7, vcc
	v_fma_f64 v[6:7], 2.0, v[46:47], v[48:49]
	buffer_store_dword v6, off, s[36:39], 0 offset:108 ; 4-byte Folded Spill
	s_nop 0
	buffer_store_dword v7, off, s[36:39], 0 offset:112 ; 4-byte Folded Spill
	buffer_store_dword v78, off, s[36:39], 0 offset:64 ; 4-byte Folded Spill
	s_nop 0
	buffer_store_dword v79, off, s[36:39], 0 offset:68 ; 4-byte Folded Spill
	;; [unrolled: 3-line block ×3, first 2 shown]
	s_waitcnt vmcnt(33)
	buffer_store_dword v38, off, s[36:39], 0 offset:32 ; 4-byte Folded Spill
	s_nop 0
	buffer_store_dword v39, off, s[36:39], 0 offset:36 ; 4-byte Folded Spill
	buffer_store_dword v70, off, s[36:39], 0 offset:212 ; 4-byte Folded Spill
	s_nop 0
	buffer_store_dword v71, off, s[36:39], 0 offset:216 ; 4-byte Folded Spill
	buffer_store_dword v72, off, s[36:39], 0 offset:220 ; 4-byte Folded Spill
	;; [unrolled: 1-line block ×3, first 2 shown]
	global_load_dwordx4 v[22:25], v[0:1], off offset:-16
	v_add_u32_e32 v123, s28, v28
	v_mul_f64 v[6:7], v[6:7], v[78:79]
	v_mul_f64 v[36:37], v[78:79], v[6:7]
	;; [unrolled: 1-line block ×3, first 2 shown]
	v_fma_f64 v[6:7], 2.0, v[50:51], v[16:17]
	v_mul_f64 v[38:39], v[38:39], v[2:3]
	v_mul_f64 v[2:3], v[70:71], v[6:7]
	;; [unrolled: 1-line block ×4, first 2 shown]
	s_waitcnt vmcnt(0)
	v_mul_f64 v[2:3], v[24:25], v[38:39]
	v_pk_mov_b32 v[72:73], v[6:7], v[6:7] op_sel:[0,1]
	v_fma_f64 v[6:7], v[22:23], v[36:37], v[30:31]
	v_pk_mov_b32 v[8:9], v[2:3], v[2:3] op_sel:[0,1]
	v_fmac_f64_e32 v[8:9], 0xbfe80000, v[6:7]
	global_load_dwordx2 v[6:7], v[40:41], off
	global_load_dwordx2 v[18:19], v[42:43], off
	s_waitcnt vmcnt(0)
	buffer_store_dword v18, off, s[36:39], 0 offset:40 ; 4-byte Folded Spill
	s_nop 0
	buffer_store_dword v19, off, s[36:39], 0 offset:44 ; 4-byte Folded Spill
	global_load_dwordx2 v[14:15], v[14:15], off
	v_pk_mov_b32 v[26:27], v[24:25], v[24:25] op_sel:[0,1]
	v_pk_mov_b32 v[24:25], v[22:23], v[22:23] op_sel:[0,1]
	v_add_f64 v[16:17], v[50:51], v[16:17]
	v_fma_f64 v[6:7], 2.0, v[6:7], v[18:19]
	buffer_store_dword v6, off, s[36:39], 0 offset:152 ; 4-byte Folded Spill
	s_nop 0
	buffer_store_dword v7, off, s[36:39], 0 offset:156 ; 4-byte Folded Spill
	s_waitcnt vmcnt(2)
	buffer_store_dword v14, off, s[36:39], 0 offset:80 ; 4-byte Folded Spill
	s_nop 0
	buffer_store_dword v15, off, s[36:39], 0 offset:84 ; 4-byte Folded Spill
	buffer_store_dword v24, off, s[36:39], 0 offset:8 ; 4-byte Folded Spill
	s_nop 0
	buffer_store_dword v25, off, s[36:39], 0 offset:12 ; 4-byte Folded Spill
	buffer_store_dword v26, off, s[36:39], 0 offset:16 ; 4-byte Folded Spill
	;; [unrolled: 1-line block ×3, first 2 shown]
	v_mul_f64 v[6:7], v[6:7], v[14:15]
	v_mul_f64 v[22:23], v[14:15], v[6:7]
	;; [unrolled: 1-line block ×3, first 2 shown]
	v_fma_f64 v[14:15], v[24:25], v[36:37], v[6:7]
	v_fma_f64 v[24:25], v[26:27], v[38:39], v[30:31]
	v_fmac_f64_e32 v[14:15], 0x40080000, v[24:25]
	v_add_u32_e32 v24, s0, v4
	v_ashrrev_i32_e32 v25, 31, v24
	v_lshlrev_b64 v[18:19], 3, v[24:25]
	buffer_store_dword v18, off, s[36:39], 0 offset:120 ; 4-byte Folded Spill
	s_nop 0
	buffer_store_dword v19, off, s[36:39], 0 offset:124 ; 4-byte Folded Spill
	v_add_u32_e32 v4, v123, v21
	v_add_co_u32_e32 v24, vcc, s16, v18
	v_addc_co_u32_e32 v25, vcc, v32, v19, vcc
	global_load_dwordx2 v[24:25], v[24:25], off
	s_waitcnt vmcnt(0)
	v_add_f64 v[24:25], v[24:25], -v[64:65]
	v_mul_f64 v[42:43], v[14:15], v[24:25]
	v_add_u32_e32 v24, s0, v20
	v_ashrrev_i32_e32 v25, 31, v24
	v_lshlrev_b64 v[14:15], 3, v[24:25]
	buffer_store_dword v14, off, s[36:39], 0 offset:232 ; 4-byte Folded Spill
	s_nop 0
	buffer_store_dword v15, off, s[36:39], 0 offset:236 ; 4-byte Folded Spill
	buffer_store_dword v4, off, s[36:39], 0 offset:416 ; 4-byte Folded Spill
	v_add_u32_e32 v4, v4, v33
	buffer_store_dword v4, off, s[36:39], 0 offset:248 ; 4-byte Folded Spill
	v_add_u32_e32 v26, s6, v4
	v_ashrrev_i32_e32 v27, 31, v26
	v_lshlrev_b64 v[28:29], 3, v[26:27]
	v_add_co_u32_e32 v24, vcc, s16, v14
	v_addc_co_u32_e32 v25, vcc, v32, v15, vcc
	global_load_dwordx2 v[24:25], v[24:25], off
	s_waitcnt vmcnt(0)
	v_add_f64 v[24:25], v[24:25], -v[64:65]
	v_fmac_f64_e32 v[42:43], v[8:9], v[24:25]
	v_add3_u32 v8, v33, v123, v11
	v_ashrrev_i32_e32 v9, 31, v8
	v_lshlrev_b64 v[8:9], 3, v[8:9]
	v_add_co_u32_e32 v24, vcc, s18, v8
	v_addc_co_u32_e32 v25, vcc, v58, v9, vcc
	v_add_co_u32_e32 v8, vcc, s20, v8
	v_addc_co_u32_e32 v9, vcc, v45, v9, vcc
	global_load_dwordx2 v[24:25], v[24:25], off
	s_nop 0
	global_load_dwordx2 v[8:9], v[8:9], off
	s_waitcnt vmcnt(0)
	buffer_store_dword v8, off, s[36:39], 0 offset:56 ; 4-byte Folded Spill
	s_nop 0
	buffer_store_dword v9, off, s[36:39], 0 offset:60 ; 4-byte Folded Spill
	v_add_co_u32_e32 v28, vcc, s22, v28
	v_addc_co_u32_e32 v29, vcc, v122, v29, vcc
	global_load_dwordx2 v[98:99], v[28:29], off
	global_load_dwordx2 v[14:15], v[0:1], off offset:16
	v_fma_f64 v[0:1], 2.0, v[24:25], v[8:9]
	buffer_store_dword v0, off, s[36:39], 0 offset:252 ; 4-byte Folded Spill
	s_nop 0
	buffer_store_dword v1, off, s[36:39], 0 offset:256 ; 4-byte Folded Spill
	v_fma_f64 v[8:9], v[126:127], v[22:23], v[30:31]
	s_waitcnt vmcnt(3)
	v_mul_f64 v[0:1], v[0:1], v[98:99]
	v_mul_f64 v[0:1], v[98:99], v[0:1]
	s_waitcnt vmcnt(2)
	v_fmac_f64_e32 v[2:3], v[14:15], v[0:1]
	v_fmac_f64_e32 v[2:3], 0x40080000, v[8:9]
	v_add_u32_e32 v8, s6, v12
	v_ashrrev_i32_e32 v9, 31, v8
	buffer_store_dword v14, off, s[36:39], 0 offset:260 ; 4-byte Folded Spill
	s_nop 0
	buffer_store_dword v15, off, s[36:39], 0 offset:264 ; 4-byte Folded Spill
	v_lshlrev_b64 v[8:9], 3, v[8:9]
	buffer_store_dword v8, off, s[36:39], 0 offset:240 ; 4-byte Folded Spill
	s_nop 0
	buffer_store_dword v9, off, s[36:39], 0 offset:244 ; 4-byte Folded Spill
	v_fmac_f64_e32 v[30:31], v[14:15], v[0:1]
	v_add_u32_e32 v0, s6, v26
	v_add_co_u32_e32 v8, vcc, s16, v8
	v_ashrrev_i32_e32 v1, 31, v0
	v_addc_co_u32_e32 v9, vcc, v32, v9, vcc
	v_lshlrev_b64 v[0:1], 3, v[0:1]
	global_load_dwordx2 v[8:9], v[8:9], off
	s_nop 0
	buffer_store_dword v0, off, s[36:39], 0 offset:276 ; 4-byte Folded Spill
	s_nop 0
	buffer_store_dword v1, off, s[36:39], 0 offset:280 ; 4-byte Folded Spill
	v_fmac_f64_e32 v[6:7], 0xbfe80000, v[30:31]
	v_add_co_u32_e32 v0, vcc, s16, v0
	v_addc_co_u32_e32 v1, vcc, v32, v1, vcc
	global_load_dwordx2 v[0:1], v[0:1], off
	s_waitcnt vmcnt(3)
	v_add_f64 v[8:9], v[8:9], -v[64:65]
	v_fmac_f64_e32 v[42:43], v[2:3], v[8:9]
	s_waitcnt vmcnt(0)
	v_add_f64 v[0:1], v[0:1], -v[64:65]
	v_fmac_f64_e32 v[42:43], v[6:7], v[0:1]
	v_add_u32_e32 v0, -2, v10
	v_mul_lo_u32 v1, v0, s8
	v_add_u32_e32 v0, v1, v5
	v_mov_b32_e32 v6, v1
	v_ashrrev_i32_e32 v1, 31, v0
	v_lshlrev_b64 v[2:3], 3, v[0:1]
	v_add_co_u32_e32 v0, vcc, s18, v2
	v_add_u32_e32 v4, s8, v6
	v_addc_co_u32_e32 v1, vcc, v58, v3, vcc
	v_mov_b32_e32 v14, v6
	v_add_u32_e32 v6, v4, v5
	v_add_co_u32_e32 v2, vcc, s20, v2
	v_ashrrev_i32_e32 v7, 31, v6
	v_addc_co_u32_e32 v3, vcc, v45, v3, vcc
	v_lshlrev_b64 v[6:7], 3, v[6:7]
	v_add_co_u32_e32 v8, vcc, s18, v6
	v_lshl_add_u32 v11, s8, 1, v4
	v_addc_co_u32_e32 v9, vcc, v58, v7, vcc
	v_add_u32_e32 v10, v11, v5
	v_add_co_u32_e32 v6, vcc, s20, v6
	v_mov_b32_e32 v24, v11
	v_ashrrev_i32_e32 v11, 31, v10
	v_addc_co_u32_e32 v7, vcc, v45, v7, vcc
	v_lshlrev_b64 v[10:11], 3, v[10:11]
	buffer_store_dword v14, off, s[36:39], 0 offset:432 ; 4-byte Folded Spill
	buffer_store_dword v4, off, s[36:39], 0 offset:372 ; 4-byte Folded Spill
	v_add_co_u32_e32 v12, vcc, s18, v10
	v_add_u32_e32 v25, v14, v44
	v_addc_co_u32_e32 v13, vcc, v58, v11, vcc
	global_load_dwordx2 v[74:75], v[0:1], off
	global_load_dwordx2 v[106:107], v[2:3], off
	v_add_u32_e32 v2, s0, v25
	v_add_co_u32_e32 v22, vcc, s20, v10
	v_ashrrev_i32_e32 v3, 31, v2
	v_addc_co_u32_e32 v23, vcc, v45, v11, vcc
	v_lshlrev_b64 v[62:63], 3, v[2:3]
	v_add_u32_e32 v2, s6, v2
	v_add_co_u32_e32 v10, vcc, s22, v62
	v_ashrrev_i32_e32 v3, 31, v2
	v_addc_co_u32_e32 v11, vcc, v122, v63, vcc
	v_lshlrev_b64 v[82:83], 3, v[2:3]
	v_add_co_u32_e32 v2, vcc, s22, v82
	v_add_u32_e32 v1, v4, v44
	v_addc_co_u32_e32 v3, vcc, v122, v83, vcc
	global_load_dwordx2 v[104:105], v[10:11], off
	global_load_dwordx2 v[34:35], v[2:3], off
	;; [unrolled: 1-line block ×3, first 2 shown]
	s_nop 0
	global_load_dwordx2 v[10:11], v[6:7], off
	v_add_u32_e32 v6, s0, v1
	v_ashrrev_i32_e32 v7, 31, v6
	v_lshlrev_b64 v[48:49], 3, v[6:7]
	v_add_u32_e32 v6, s6, v6
	v_add_co_u32_e32 v8, vcc, s22, v48
	v_ashrrev_i32_e32 v7, 31, v6
	v_addc_co_u32_e32 v9, vcc, v122, v49, vcc
	v_lshlrev_b64 v[108:109], 3, v[6:7]
	v_add_co_u32_e32 v6, vcc, s22, v108
	v_addc_co_u32_e32 v7, vcc, v122, v109, vcc
	global_load_dwordx2 v[110:111], v[8:9], off
	global_load_dwordx2 v[90:91], v[6:7], off
	s_nop 0
	buffer_store_dword v16, off, s[36:39], 0 offset:644 ; 4-byte Folded Spill
	s_nop 0
	buffer_store_dword v17, off, s[36:39], 0 offset:648 ; 4-byte Folded Spill
	buffer_store_dword v52, off, s[36:39], 0 offset:160 ; 4-byte Folded Spill
	s_nop 0
	buffer_store_dword v53, off, s[36:39], 0 offset:164 ; 4-byte Folded Spill
	v_add_u32_e32 v6, s4, v86
	v_ashrrev_i32_e32 v7, 31, v6
	v_lshlrev_b64 v[68:69], 3, v[6:7]
	v_add_u32_e32 v4, v24, v44
	v_add_u32_e32 v54, s6, v1
	v_ashrrev_i32_e32 v55, 31, v54
	v_lshlrev_b64 v[0:1], 3, v[54:55]
	v_add_u32_e32 v54, s4, v54
	v_ashrrev_i32_e32 v55, 31, v54
	v_lshlrev_b64 v[54:55], 3, v[54:55]
	v_add_co_u32_e32 v8, vcc, s22, v52
	v_addc_co_u32_e32 v9, vcc, v122, v53, vcc
	v_add_co_u32_e32 v2, vcc, s22, v68
	buffer_store_dword v8, off, s[36:39], 0 offset:540 ; 4-byte Folded Spill
	s_nop 0
	buffer_store_dword v9, off, s[36:39], 0 offset:544 ; 4-byte Folded Spill
	v_addc_co_u32_e32 v3, vcc, v122, v69, vcc
	buffer_store_dword v2, off, s[36:39], 0 offset:548 ; 4-byte Folded Spill
	s_nop 0
	buffer_store_dword v3, off, s[36:39], 0 offset:552 ; 4-byte Folded Spill
	global_load_dwordx4 v[18:21], v[8:9], off
	global_load_dwordx4 v[26:29], v[2:3], off
	s_waitcnt vmcnt(16)
	v_add_f64 v[2:3], v[74:75], v[106:107]
	buffer_store_dword v2, off, s[36:39], 0 offset:652 ; 4-byte Folded Spill
	s_nop 0
	buffer_store_dword v3, off, s[36:39], 0 offset:656 ; 4-byte Folded Spill
	s_waitcnt vmcnt(3)
	v_mul_f64 v[6:7], v[16:17], v[18:19]
	s_waitcnt vmcnt(2)
	v_mul_f64 v[46:47], v[6:7], v[26:27]
	v_mul_f64 v[6:7], v[2:3], v[104:105]
	v_add_f64 v[2:3], v[14:15], v[10:11]
	buffer_store_dword v2, off, s[36:39], 0 offset:660 ; 4-byte Folded Spill
	s_nop 0
	buffer_store_dword v3, off, s[36:39], 0 offset:664 ; 4-byte Folded Spill
	buffer_store_dword v10, off, s[36:39], 0 offset:628 ; 4-byte Folded Spill
	s_nop 0
	buffer_store_dword v11, off, s[36:39], 0 offset:632 ; 4-byte Folded Spill
	global_load_dwordx2 v[92:93], v[12:13], off
	global_load_dwordx2 v[116:117], v[22:23], off
	v_add_u32_e32 v12, s0, v4
	v_ashrrev_i32_e32 v13, 31, v12
	v_fma_f64 v[16:17], v[6:7], v[34:35], v[46:47]
	v_lshlrev_b64 v[52:53], 3, v[12:13]
	v_add_u32_e32 v12, s6, v12
	v_ashrrev_i32_e32 v13, 31, v12
	v_lshlrev_b64 v[70:71], 3, v[12:13]
	buffer_store_dword v24, off, s[36:39], 0 offset:420 ; 4-byte Folded Spill
	v_mul_f64 v[8:9], v[2:3], v[110:111]
	v_mul_f64 v[56:57], v[8:9], v[90:91]
	v_pk_mov_b32 v[38:39], v[56:57], v[56:57] op_sel:[0,1]
	v_fmac_f64_e32 v[38:39], 0xbfe80000, v[16:17]
	v_add_co_u32_e32 v16, vcc, s22, v52
	v_addc_co_u32_e32 v17, vcc, v122, v53, vcc
	v_add_co_u32_e32 v12, vcc, s22, v70
	v_addc_co_u32_e32 v13, vcc, v122, v71, vcc
	global_load_dwordx2 v[94:95], v[16:17], off
	global_load_dwordx2 v[30:31], v[12:13], off
	s_waitcnt vmcnt(3)
	v_add_f64 v[102:103], v[92:93], v[116:117]
	v_fma_f64 v[8:9], v[8:9], v[90:91], v[46:47]
	s_waitcnt vmcnt(1)
	v_mul_f64 v[60:61], v[102:103], v[94:95]
	s_waitcnt vmcnt(0)
	v_mul_f64 v[96:97], v[60:61], v[30:31]
	v_fma_f64 v[6:7], v[6:7], v[34:35], v[96:97]
	v_fmac_f64_e32 v[6:7], 0x40080000, v[8:9]
	v_add_co_u32_e32 v8, vcc, s16, v84
	v_addc_co_u32_e32 v9, vcc, v32, v85, vcc
	global_load_dwordx2 v[114:115], v[8:9], off
	s_nop 0
	buffer_store_dword v0, off, s[36:39], 0 offset:572 ; 4-byte Folded Spill
	s_nop 0
	buffer_store_dword v1, off, s[36:39], 0 offset:576 ; 4-byte Folded Spill
	v_add_u32_e32 v84, s6, v25
	v_ashrrev_i32_e32 v85, 31, v84
	v_add_co_u32_e32 v76, vcc, s16, v0
	v_addc_co_u32_e32 v77, vcc, v32, v1, vcc
	global_load_dwordx4 v[0:3], v[76:77], off
	s_waitcnt vmcnt(0)
	buffer_store_dword v0, off, s[36:39], 0 offset:556 ; 4-byte Folded Spill
	s_nop 0
	buffer_store_dword v1, off, s[36:39], 0 offset:560 ; 4-byte Folded Spill
	buffer_store_dword v2, off, s[36:39], 0 offset:564 ; 4-byte Folded Spill
	;; [unrolled: 1-line block ×3, first 2 shown]
	v_add_f64 v[8:9], v[0:1], -v[114:115]
	v_lshlrev_b64 v[0:1], 3, v[84:85]
	buffer_store_dword v0, off, s[36:39], 0 offset:596 ; 4-byte Folded Spill
	s_nop 0
	buffer_store_dword v1, off, s[36:39], 0 offset:600 ; 4-byte Folded Spill
	v_mul_f64 v[100:101], v[6:7], v[8:9]
	v_add_co_u32_e32 v40, vcc, s16, v0
	v_addc_co_u32_e32 v41, vcc, v32, v1, vcc
	global_load_dwordx4 v[0:3], v[40:41], off
	s_waitcnt vmcnt(0)
	buffer_store_dword v0, off, s[36:39], 0 offset:580 ; 4-byte Folded Spill
	s_nop 0
	buffer_store_dword v1, off, s[36:39], 0 offset:584 ; 4-byte Folded Spill
	buffer_store_dword v2, off, s[36:39], 0 offset:588 ; 4-byte Folded Spill
	buffer_store_dword v3, off, s[36:39], 0 offset:592 ; 4-byte Folded Spill
	v_add_f64 v[6:7], v[0:1], -v[114:115]
	v_add_u32_e32 v0, s8, v24
	v_fmac_f64_e32 v[100:101], v[38:39], v[6:7]
	v_add_u32_e32 v6, v0, v5
	v_ashrrev_i32_e32 v7, 31, v6
	v_lshlrev_b64 v[6:7], 3, v[6:7]
	v_add_co_u32_e32 v8, vcc, s18, v6
	v_addc_co_u32_e32 v9, vcc, v58, v7, vcc
	buffer_store_dword v0, off, s[36:39], 0 offset:444 ; 4-byte Folded Spill
	v_add_co_u32_e32 v6, vcc, s20, v6
	v_add_u32_e32 v0, v0, v44
	v_addc_co_u32_e32 v7, vcc, v45, v7, vcc
	global_load_dwordx2 v[12:13], v[8:9], off
	global_load_dwordx2 v[78:79], v[6:7], off
	v_add_u32_e32 v6, s0, v0
	v_ashrrev_i32_e32 v7, 31, v6
	v_lshlrev_b64 v[58:59], 3, v[6:7]
	v_add_u32_e32 v6, s6, v6
	v_add_co_u32_e32 v8, vcc, s22, v58
	v_ashrrev_i32_e32 v7, 31, v6
	v_addc_co_u32_e32 v9, vcc, v122, v59, vcc
	v_lshlrev_b64 v[112:113], 3, v[6:7]
	v_add_co_u32_e32 v6, vcc, s22, v112
	v_addc_co_u32_e32 v7, vcc, v122, v113, vcc
	global_load_dwordx2 v[66:67], v[8:9], off
	global_load_dwordx2 v[24:25], v[6:7], off
	v_fma_f64 v[8:9], v[60:61], v[30:31], v[46:47]
	v_add_u32_e32 v60, s6, v4
	v_ashrrev_i32_e32 v61, 31, v60
	v_lshlrev_b64 v[2:3], 3, v[60:61]
	buffer_store_dword v2, off, s[36:39], 0 offset:620 ; 4-byte Folded Spill
	s_nop 0
	buffer_store_dword v3, off, s[36:39], 0 offset:624 ; 4-byte Folded Spill
	v_add_u32_e32 v60, s4, v60
	v_ashrrev_i32_e32 v61, 31, v60
	v_lshlrev_b64 v[60:61], 3, v[60:61]
	s_mov_b32 s0, 0x55555555
	s_mov_b32 s2, s0
	s_waitcnt vmcnt(4)
	v_add_f64 v[88:89], v[12:13], v[78:79]
	s_waitcnt vmcnt(3)
	v_mul_f64 v[44:45], v[88:89], v[66:67]
	s_waitcnt vmcnt(2)
	v_fmac_f64_e32 v[56:57], v[44:45], v[24:25]
	v_fmac_f64_e32 v[56:57], 0x40080000, v[8:9]
	;; [unrolled: 1-line block ×4, first 2 shown]
	v_add_co_u32_e32 v36, vcc, s16, v2
	v_addc_co_u32_e32 v37, vcc, v32, v3, vcc
	global_load_dwordx4 v[2:5], v[36:37], off
	s_waitcnt vmcnt(0)
	buffer_store_dword v2, off, s[36:39], 0 offset:604 ; 4-byte Folded Spill
	s_nop 0
	buffer_store_dword v3, off, s[36:39], 0 offset:608 ; 4-byte Folded Spill
	buffer_store_dword v4, off, s[36:39], 0 offset:612 ; 4-byte Folded Spill
	;; [unrolled: 1-line block ×3, first 2 shown]
	v_add_u32_e32 v4, s6, v0
	v_ashrrev_i32_e32 v5, 31, v4
	v_lshlrev_b64 v[0:1], 3, v[4:5]
	buffer_store_dword v0, off, s[36:39], 0 offset:636 ; 4-byte Folded Spill
	s_nop 0
	buffer_store_dword v1, off, s[36:39], 0 offset:640 ; 4-byte Folded Spill
	v_pk_mov_b32 v[6:7], v[26:27], v[26:27] op_sel:[0,1]
	v_add_u32_e32 v4, s4, v4
	v_ashrrev_i32_e32 v5, 31, v4
	v_lshlrev_b64 v[4:5], 3, v[4:5]
	v_pk_mov_b32 v[8:9], v[28:29], v[28:29] op_sel:[0,1]
	v_mul_f64 v[28:29], v[88:89], v[24:25]
	v_add_f64 v[38:39], v[2:3], -v[114:115]
	v_fmac_f64_e32 v[100:101], v[56:57], v[38:39]
	v_lshl_add_u32 v56, s6, 2, v86
	v_pk_mov_b32 v[86:87], v[74:75], v[74:75] op_sel:[0,1]
	v_ashrrev_i32_e32 v57, 31, v56
	v_lshlrev_b64 v[56:57], 3, v[56:57]
	v_add_co_u32_e32 v38, vcc, s16, v0
	v_addc_co_u32_e32 v39, vcc, v32, v1, vcc
	global_load_dwordx4 v[44:47], v[38:39], off
	s_waitcnt vmcnt(0)
	v_add_f64 v[44:45], v[44:45], -v[114:115]
	v_fmac_f64_e32 v[100:101], v[96:97], v[44:45]
	v_add_u32_e32 v44, s4, v84
	v_ashrrev_i32_e32 v45, 31, v44
	v_lshlrev_b64 v[44:45], 3, v[44:45]
	v_add_co_u32_e32 v44, vcc, s22, v44
	v_addc_co_u32_e32 v45, vcc, v122, v45, vcc
	global_load_dwordx2 v[96:97], v[44:45], off
	v_mul_f64 v[44:45], v[118:119], v[104:105]
	v_mul_f64 v[44:45], v[104:105], v[44:45]
	v_add_co_u32_e32 v54, vcc, s22, v54
	v_addc_co_u32_e32 v55, vcc, v122, v55, vcc
	v_add_co_u32_e32 v56, vcc, s22, v56
	v_addc_co_u32_e32 v57, vcc, v122, v57, vcc
	;; [unrolled: 2-line block ×4, first 2 shown]
	s_waitcnt vmcnt(0)
	v_mul_f64 v[84:85], v[96:97], v[96:97]
	v_fmac_f64_e32 v[84:85], v[118:119], v[44:45]
	v_fma_f64 v[44:45], 2.0, v[86:87], v[106:107]
	v_mul_f64 v[0:1], v[44:45], v[34:35]
	buffer_store_dword v0, off, s[36:39], 0 offset:436 ; 4-byte Folded Spill
	s_nop 0
	buffer_store_dword v1, off, s[36:39], 0 offset:440 ; 4-byte Folded Spill
	v_mul_f64 v[84:85], v[86:87], v[84:85]
	buffer_store_dword v86, off, s[36:39], 0 offset:348 ; 4-byte Folded Spill
	s_nop 0
	buffer_store_dword v87, off, s[36:39], 0 offset:352 ; 4-byte Folded Spill
	global_load_dwordx2 v[16:17], v[54:55], off
	s_nop 0
	buffer_store_dword v14, off, s[36:39], 0 offset:48 ; 4-byte Folded Spill
	s_nop 0
	buffer_store_dword v15, off, s[36:39], 0 offset:52 ; 4-byte Folded Spill
	v_mul_f64 v[44:45], v[124:125], v[0:1]
	v_mul_f64 v[44:45], v[34:35], v[44:45]
	v_fmac_f64_e32 v[84:85], v[124:125], v[44:45]
	v_mul_f64 v[44:45], v[118:119], v[110:111]
	v_mul_f64 v[44:45], v[110:111], v[44:45]
	s_waitcnt vmcnt(2)
	v_mul_f64 v[54:55], v[16:17], v[16:17]
	v_fmac_f64_e32 v[54:55], v[118:119], v[44:45]
	v_fma_f64 v[44:45], 2.0, v[14:15], v[10:11]
	v_mul_f64 v[2:3], v[44:45], v[90:91]
	buffer_store_dword v2, off, s[36:39], 0 offset:408 ; 4-byte Folded Spill
	s_nop 0
	buffer_store_dword v3, off, s[36:39], 0 offset:412 ; 4-byte Folded Spill
	v_mul_f64 v[14:15], v[14:15], v[54:55]
	v_mul_f64 v[44:45], v[124:125], v[2:3]
	global_load_dwordx2 v[2:3], v[56:57], off
	s_nop 0
	buffer_store_dword v18, off, s[36:39], 0 offset:472 ; 4-byte Folded Spill
	s_nop 0
	buffer_store_dword v19, off, s[36:39], 0 offset:476 ; 4-byte Folded Spill
	buffer_store_dword v20, off, s[36:39], 0 offset:480 ; 4-byte Folded Spill
	;; [unrolled: 1-line block ×3, first 2 shown]
	global_load_dwordx2 v[22:23], v[60:61], off
	v_mul_f64 v[44:45], v[90:91], v[44:45]
	v_fmac_f64_e32 v[14:15], v[124:125], v[44:45]
	v_pk_mov_b32 v[60:61], v[14:15], v[14:15] op_sel:[0,1]
	v_mul_f64 v[44:45], v[118:119], v[18:19]
	v_mul_f64 v[44:45], v[18:19], v[44:45]
	s_waitcnt vmcnt(5)
	v_mul_f64 v[54:55], v[2:3], v[2:3]
	v_fmac_f64_e32 v[54:55], v[118:119], v[44:45]
	v_mul_f64 v[44:45], v[50:51], v[54:55]
	v_mul_f64 v[50:51], v[72:73], v[6:7]
	;; [unrolled: 1-line block ×4, first 2 shown]
	v_fmac_f64_e32 v[44:45], v[124:125], v[50:51]
	v_mul_f64 v[50:51], v[118:119], v[94:95]
	v_mul_f64 v[50:51], v[94:95], v[50:51]
	s_waitcnt vmcnt(0)
	v_mul_f64 v[54:55], v[22:23], v[22:23]
	v_fmac_f64_e32 v[54:55], v[118:119], v[50:51]
	v_fma_f64 v[50:51], 2.0, v[92:93], v[116:117]
	v_mul_f64 v[0:1], v[50:51], v[30:31]
	buffer_store_dword v0, off, s[36:39], 0 offset:424 ; 4-byte Folded Spill
	s_nop 0
	buffer_store_dword v1, off, s[36:39], 0 offset:428 ; 4-byte Folded Spill
	v_pk_mov_b32 v[72:73], v[118:119], v[118:119] op_sel:[0,1]
	v_pk_mov_b32 v[74:75], v[120:121], v[120:121] op_sel:[0,1]
	v_add_co_u32_e32 v120, vcc, s16, v48
	v_addc_co_u32_e32 v121, vcc, v32, v49, vcc
	v_add_co_u32_e32 v4, vcc, s22, v4
	v_addc_co_u32_e32 v5, vcc, v122, v5, vcc
	v_mul_f64 v[50:51], v[124:125], v[0:1]
	v_mul_f64 v[50:51], v[30:31], v[50:51]
	;; [unrolled: 1-line block ×3, first 2 shown]
	v_fmac_f64_e32 v[0:1], v[124:125], v[50:51]
	v_add_f64 v[50:51], v[84:85], v[44:45]
	buffer_store_dword v92, off, s[36:39], 0 offset:180 ; 4-byte Folded Spill
	s_nop 0
	buffer_store_dword v93, off, s[36:39], 0 offset:184 ; 4-byte Folded Spill
	v_fmac_f64_e32 v[60:61], 0xbfe80000, v[50:51]
	v_add_f64 v[54:55], v[84:85], v[0:1]
	v_add_f64 v[50:51], v[14:15], v[44:45]
	v_fmac_f64_e32 v[54:55], 0x40080000, v[50:51]
	global_load_dwordx4 v[48:51], v[120:121], off
	global_load_dwordx2 v[10:11], v[4:5], off
	v_mul_f64 v[4:5], v[72:73], v[66:67]
	v_mul_f64 v[4:5], v[66:67], v[4:5]
	s_waitcnt vmcnt(1)
	v_add_f64 v[20:21], v[48:49], -v[64:65]
	v_mul_f64 v[20:21], v[20:21], v[54:55]
	global_load_dwordx4 v[54:57], v[114:115], off
	s_waitcnt vmcnt(0)
	v_add_f64 v[48:49], v[54:55], -v[64:65]
	v_mul_f64 v[54:55], v[10:11], v[10:11]
	v_fmac_f64_e32 v[54:55], v[72:73], v[4:5]
	v_fma_f64 v[4:5], 2.0, v[12:13], v[78:79]
	v_mul_f64 v[4:5], v[4:5], v[24:25]
	buffer_store_dword v4, off, s[36:39], 0 offset:448 ; 4-byte Folded Spill
	s_nop 0
	buffer_store_dword v5, off, s[36:39], 0 offset:452 ; 4-byte Folded Spill
	v_fmac_f64_e32 v[20:21], v[48:49], v[60:61]
	v_mul_f64 v[60:61], v[12:13], v[54:55]
	buffer_store_dword v12, off, s[36:39], 0 offset:332 ; 4-byte Folded Spill
	s_nop 0
	buffer_store_dword v13, off, s[36:39], 0 offset:336 ; 4-byte Folded Spill
	v_mul_f64 v[4:5], v[124:125], v[4:5]
	v_mul_f64 v[4:5], v[24:25], v[4:5]
	v_fmac_f64_e32 v[60:61], v[124:125], v[4:5]
	v_add_f64 v[4:5], v[14:15], v[60:61]
	v_add_f64 v[14:15], v[44:45], v[0:1]
	v_fmac_f64_e32 v[4:5], 0x40080000, v[14:15]
	v_add_co_u32_e32 v14, vcc, s16, v52
	buffer_store_dword v124, off, s[36:39], 0 offset:456 ; 4-byte Folded Spill
	s_nop 0
	buffer_store_dword v125, off, s[36:39], 0 offset:460 ; 4-byte Folded Spill
	buffer_store_dword v126, off, s[36:39], 0 offset:464 ; 4-byte Folded Spill
	;; [unrolled: 1-line block ×3, first 2 shown]
	v_addc_co_u32_e32 v15, vcc, v32, v53, vcc
	global_load_dwordx4 v[52:55], v[14:15], off
	s_waitcnt vmcnt(0)
	v_add_f64 v[52:53], v[52:53], -v[64:65]
	v_fmac_f64_e32 v[20:21], v[52:53], v[4:5]
	v_add_f64 v[4:5], v[44:45], v[60:61]
	v_fmac_f64_e32 v[0:1], 0xbfe80000, v[4:5]
	v_add_co_u32_e32 v4, vcc, s16, v58
	v_addc_co_u32_e32 v5, vcc, v32, v59, vcc
	global_load_dwordx4 v[58:61], v[4:5], off
	s_waitcnt vmcnt(0)
	v_add_f64 v[44:45], v[58:59], -v[64:65]
	v_fmac_f64_e32 v[20:21], v[44:45], v[0:1]
	buffer_load_dword v0, off, s[36:39], 0 offset:520 ; 4-byte Folded Reload
	buffer_load_dword v1, off, s[36:39], 0 offset:524 ; 4-byte Folded Reload
	s_waitcnt vmcnt(0)
	v_div_fixup_f64 v[84:85], v[0:1], v[124:125], 1.0
	buffer_load_dword v0, off, s[36:39], 0 offset:528 ; 4-byte Folded Reload
	buffer_load_dword v1, off, s[36:39], 0 offset:532 ; 4-byte Folded Reload
	s_waitcnt vmcnt(0)
	v_div_fixup_f64 v[124:125], v[0:1], v[72:73], 1.0
	v_mul_f64 v[0:1], v[80:81], s[0:1]
	v_fma_f64 v[52:53], v[84:85], v[0:1], 0
	v_mul_f64 v[0:1], v[42:43], s[0:1]
	v_fmac_f64_e32 v[52:53], v[124:125], v[0:1]
	v_fmac_f64_e32 v[52:53], s[0:1], v[100:101]
	v_mul_f64 v[0:1], v[20:21], s[0:1]
	v_mul_f64 v[18:19], v[124:125], v[84:85]
	v_fmac_f64_e32 v[52:53], v[18:19], v[0:1]
	buffer_load_dword v0, off, s[36:39], 0 offset:644 ; 4-byte Folded Reload
	buffer_load_dword v1, off, s[36:39], 0 offset:648 ; 4-byte Folded Reload
	v_pk_mov_b32 v[42:43], v[8:9], v[8:9] op_sel:[0,1]
	s_waitcnt vmcnt(0)
	v_mul_f64 v[0:1], v[0:1], v[6:7]
	v_mul_f64 v[0:1], v[0:1], v[2:3]
	buffer_load_dword v2, off, s[36:39], 0 offset:652 ; 4-byte Folded Reload
	buffer_load_dword v3, off, s[36:39], 0 offset:656 ; 4-byte Folded Reload
	buffer_load_dword v6, off, s[36:39], 0 offset:660 ; 4-byte Folded Reload
	buffer_load_dword v7, off, s[36:39], 0 offset:664 ; 4-byte Folded Reload
	s_nop 0
	buffer_store_dword v16, off, s[36:39], 0 offset:128 ; 4-byte Folded Spill
	s_nop 0
	buffer_store_dword v17, off, s[36:39], 0 offset:132 ; 4-byte Folded Spill
	buffer_store_dword v96, off, s[36:39], 0 offset:268 ; 4-byte Folded Spill
	s_nop 0
	buffer_store_dword v97, off, s[36:39], 0 offset:272 ; 4-byte Folded Spill
	;; [unrolled: 3-line block ×3, first 2 shown]
	s_waitcnt vmcnt(8)
	v_mul_f64 v[2:3], v[2:3], v[34:35]
	s_waitcnt vmcnt(6)
	v_mul_f64 v[18:19], v[6:7], v[90:91]
	v_mul_f64 v[20:21], v[18:19], v[16:17]
	v_fma_f64 v[58:59], v[2:3], v[96:97], v[0:1]
	v_pk_mov_b32 v[64:65], v[20:21], v[20:21] op_sel:[0,1]
	v_fmac_f64_e32 v[64:65], 0xbfe80000, v[58:59]
	v_mul_f64 v[58:59], v[102:103], v[30:31]
	v_mul_f64 v[80:81], v[58:59], v[22:23]
	v_fma_f64 v[2:3], v[2:3], v[96:97], v[80:81]
	v_fma_f64 v[18:19], v[18:19], v[16:17], v[0:1]
	v_fmac_f64_e32 v[2:3], 0x40080000, v[18:19]
	v_add_co_u32_e32 v18, vcc, s16, v82
	v_addc_co_u32_e32 v19, vcc, v32, v83, vcc
	v_add_co_u32_e32 v62, vcc, s16, v68
	v_addc_co_u32_e32 v63, vcc, v32, v69, vcc
	;; [unrolled: 2-line block ×3, first 2 shown]
	global_load_dwordx2 v[62:63], v[62:63], off
	s_nop 0
	global_load_dwordx2 v[68:69], v[68:69], off
	v_fma_f64 v[58:59], v[58:59], v[22:23], v[0:1]
	global_load_dwordx2 v[18:19], v[18:19], off
	s_nop 0
	buffer_store_dword v10, off, s[36:39], 0 offset:284 ; 4-byte Folded Spill
	s_nop 0
	buffer_store_dword v11, off, s[36:39], 0 offset:288 ; 4-byte Folded Spill
	buffer_load_dword v6, off, s[36:39], 0 offset:300 ; 4-byte Folded Reload
	v_add_u32_e32 v22, s6, v33
	s_waitcnt vmcnt(4)
	v_add_f64 v[68:69], v[68:69], -v[62:63]
	v_mul_f64 v[2:3], v[2:3], v[68:69]
	s_waitcnt vmcnt(3)
	v_add_f64 v[18:19], v[18:19], -v[62:63]
	v_fmac_f64_e32 v[2:3], v[64:65], v[18:19]
	v_add_co_u32_e32 v18, vcc, s16, v70
	v_addc_co_u32_e32 v19, vcc, v32, v71, vcc
	v_fmac_f64_e32 v[0:1], v[28:29], v[10:11]
	v_fmac_f64_e32 v[80:81], 0xbfe80000, v[0:1]
	v_add_co_u32_e32 v0, vcc, s16, v112
	global_load_dwordx2 v[18:19], v[18:19], off
	v_addc_co_u32_e32 v1, vcc, v32, v113, vcc
	global_load_dwordx2 v[0:1], v[0:1], off
	s_waitcnt vmcnt(2)
	v_add3_u32 v48, v6, s7, v22
	buffer_load_dword v6, off, s[36:39], 0 offset:308 ; 4-byte Folded Reload
	v_fmac_f64_e32 v[20:21], v[28:29], v[10:11]
	v_fmac_f64_e32 v[20:21], 0x40080000, v[58:59]
	s_waitcnt vmcnt(2)
	v_add_f64 v[18:19], v[18:19], -v[62:63]
	v_fmac_f64_e32 v[2:3], v[20:21], v[18:19]
	v_add_u32_e32 v18, v48, v123
	s_waitcnt vmcnt(1)
	v_add_f64 v[0:1], v[0:1], -v[62:63]
	v_fmac_f64_e32 v[2:3], v[80:81], v[0:1]
	buffer_load_dword v0, off, s[36:39], 0 offset:364 ; 4-byte Folded Reload
	s_waitcnt vmcnt(1)
	v_add3_u32 v49, v6, s7, v22
	buffer_load_dword v6, off, s[36:39], 0 offset:292 ; 4-byte Folded Reload
	v_ashrrev_i32_e32 v19, 31, v18
	v_lshlrev_b64 v[18:19], 3, v[18:19]
	v_add_u32_e32 v20, v49, v123
	v_ashrrev_i32_e32 v21, 31, v20
	v_lshlrev_b64 v[20:21], 3, v[20:21]
	v_mul_f64 v[2:3], v[2:3], s[0:1]
	s_mov_b32 s1, 0x3fb55555
	s_waitcnt vmcnt(1)
	v_add3_u32 v33, v0, s7, v22
	v_add_u32_e32 v0, v33, v123
	v_ashrrev_i32_e32 v1, 31, v0
	v_lshlrev_b64 v[0:1], 3, v[0:1]
	v_add_co_u32_e32 v0, vcc, s16, v0
	v_addc_co_u32_e32 v1, vcc, v32, v1, vcc
	v_add_co_u32_e32 v18, vcc, s16, v18
	s_waitcnt vmcnt(0)
	v_add3_u32 v108, v6, s7, v22
	v_addc_co_u32_e32 v19, vcc, v32, v19, vcc
	v_add_u32_e32 v22, v108, v123
	buffer_load_dword v6, off, s[36:39], 0 offset:376 ; 4-byte Folded Reload
	v_add_co_u32_e32 v20, vcc, s16, v20
	v_ashrrev_i32_e32 v23, 31, v22
	v_addc_co_u32_e32 v21, vcc, v32, v21, vcc
	v_lshlrev_b64 v[22:23], 3, v[22:23]
	v_add_co_u32_e32 v22, vcc, s16, v22
	v_addc_co_u32_e32 v23, vcc, v32, v23, vcc
	global_load_dwordx2 v[0:1], v[0:1], off
	s_nop 0
	global_load_dwordx2 v[18:19], v[18:19], off
	s_nop 0
	;; [unrolled: 2-line block ×4, first 2 shown]
	buffer_store_dword v2, off, s[36:39], 0 offset:292 ; 4-byte Folded Spill
	s_nop 0
	buffer_store_dword v3, off, s[36:39], 0 offset:296 ; 4-byte Folded Spill
	s_waitcnt vmcnt(6)
	v_add_u32_e32 v28, v33, v6
	v_ashrrev_i32_e32 v29, 31, v28
	v_lshlrev_b64 v[28:29], 3, v[28:29]
	v_add_u32_e32 v58, v48, v6
	v_add_co_u32_e32 v28, vcc, s16, v28
	v_ashrrev_i32_e32 v59, 31, v58
	v_addc_co_u32_e32 v29, vcc, v32, v29, vcc
	v_lshlrev_b64 v[58:59], 3, v[58:59]
	v_add_u32_e32 v62, v49, v6
	s_waitcnt vmcnt(4)
	v_add_f64 v[2:3], v[0:1], -v[18:19]
	v_add_co_u32_e32 v58, vcc, s16, v58
	v_ashrrev_i32_e32 v63, 31, v62
	v_mul_f64 v[2:3], v[2:3], s[0:1]
	s_waitcnt vmcnt(2)
	v_add_f64 v[64:65], v[20:21], -v[22:23]
	v_addc_co_u32_e32 v59, vcc, v32, v59, vcc
	v_lshlrev_b64 v[62:63], 3, v[62:63]
	v_fma_f64 v[2:3], v[64:65], s[2:3], -v[2:3]
	v_add_u32_e32 v64, v108, v6
	v_add_co_u32_e32 v62, vcc, s16, v62
	v_ashrrev_i32_e32 v65, 31, v64
	v_addc_co_u32_e32 v63, vcc, v32, v63, vcc
	v_lshlrev_b64 v[64:65], 3, v[64:65]
	v_add_co_u32_e32 v64, vcc, s16, v64
	v_addc_co_u32_e32 v65, vcc, v32, v65, vcc
	global_load_dwordx2 v[28:29], v[28:29], off
	s_nop 0
	global_load_dwordx2 v[58:59], v[58:59], off
	s_nop 0
	;; [unrolled: 2-line block ×3, first 2 shown]
	global_load_dwordx2 v[64:65], v[64:65], off
	s_waitcnt vmcnt(3)
	v_add_f64 v[0:1], v[0:1], -v[28:29]
	s_waitcnt vmcnt(2)
	v_add_f64 v[68:69], v[28:29], -v[58:59]
	v_mul_f64 v[68:69], v[68:69], s[0:1]
	s_waitcnt vmcnt(0)
	v_add_f64 v[70:71], v[62:63], -v[64:65]
	v_fma_f64 v[68:69], v[70:71], s[2:3], -v[68:69]
	buffer_load_dword v6, off, s[36:39], 0 offset:64 ; 4-byte Folded Reload
	buffer_load_dword v7, off, s[36:39], 0 offset:68 ; 4-byte Folded Reload
	;; [unrolled: 1-line block ×4, first 2 shown]
	s_nop 0
	buffer_store_dword v98, off, s[36:39], 0 offset:72 ; 4-byte Folded Spill
	s_nop 0
	buffer_store_dword v99, off, s[36:39], 0 offset:76 ; 4-byte Folded Spill
	v_mul_f64 v[0:1], v[0:1], s[0:1]
	s_waitcnt vmcnt(2)
	v_mul_f64 v[70:71], v[70:71], v[6:7]
	v_mul_f64 v[70:71], v[6:7], v[70:71]
	buffer_load_dword v6, off, s[36:39], 0 offset:56 ; 4-byte Folded Reload
	buffer_load_dword v7, off, s[36:39], 0 offset:60 ; 4-byte Folded Reload
	v_mul_f64 v[68:69], v[70:71], v[68:69]
	s_waitcnt vmcnt(0)
	v_mul_f64 v[70:71], v[6:7], v[98:99]
	v_mul_f64 v[70:71], v[98:99], v[70:71]
	v_fma_f64 v[2:3], v[70:71], v[2:3], -v[68:69]
	buffer_store_dword v2, off, s[36:39], 0 offset:300 ; 4-byte Folded Spill
	s_nop 0
	buffer_store_dword v3, off, s[36:39], 0 offset:304 ; 4-byte Folded Spill
	buffer_load_dword v6, off, s[36:39], 0 offset:536 ; 4-byte Folded Reload
	s_waitcnt vmcnt(0)
	v_add_u32_e32 v2, v33, v6
	v_ashrrev_i32_e32 v3, 31, v2
	v_lshlrev_b64 v[2:3], 3, v[2:3]
	v_add_u32_e32 v68, v48, v6
	v_add_co_u32_e32 v2, vcc, s16, v2
	v_ashrrev_i32_e32 v69, 31, v68
	v_addc_co_u32_e32 v3, vcc, v32, v3, vcc
	v_lshlrev_b64 v[68:69], 3, v[68:69]
	v_add_u32_e32 v70, v49, v6
	v_add_co_u32_e32 v68, vcc, s16, v68
	v_ashrrev_i32_e32 v71, 31, v70
	v_addc_co_u32_e32 v69, vcc, v32, v69, vcc
	v_lshlrev_b64 v[70:71], 3, v[70:71]
	v_add_u32_e32 v80, v108, v6
	buffer_load_dword v6, off, s[36:39], 0 offset:512 ; 4-byte Folded Reload
	v_add_co_u32_e32 v70, vcc, s16, v70
	v_ashrrev_i32_e32 v81, 31, v80
	v_addc_co_u32_e32 v71, vcc, v32, v71, vcc
	v_lshlrev_b64 v[80:81], 3, v[80:81]
	v_add_co_u32_e32 v80, vcc, s16, v80
	v_addc_co_u32_e32 v81, vcc, v32, v81, vcc
	global_load_dwordx2 v[2:3], v[2:3], off
	s_nop 0
	global_load_dwordx2 v[68:69], v[68:69], off
	s_nop 0
	;; [unrolled: 2-line block ×3, first 2 shown]
	global_load_dwordx2 v[80:81], v[80:81], off
	s_waitcnt vmcnt(4)
	v_add_u32_e32 v82, v33, v6
	v_ashrrev_i32_e32 v83, 31, v82
	v_lshlrev_b64 v[82:83], 3, v[82:83]
	v_add_u32_e32 v88, v48, v6
	v_add_co_u32_e32 v82, vcc, s16, v82
	v_ashrrev_i32_e32 v89, 31, v88
	v_addc_co_u32_e32 v83, vcc, v32, v83, vcc
	v_lshlrev_b64 v[88:89], 3, v[88:89]
	v_add_u32_e32 v98, v49, v6
	s_waitcnt vmcnt(2)
	v_add_f64 v[100:101], v[2:3], -v[68:69]
	v_add_co_u32_e32 v88, vcc, s16, v88
	v_ashrrev_i32_e32 v99, 31, v98
	v_mul_f64 v[100:101], v[100:101], s[0:1]
	s_waitcnt vmcnt(0)
	v_add_f64 v[102:103], v[70:71], -v[80:81]
	v_addc_co_u32_e32 v89, vcc, v32, v89, vcc
	v_lshlrev_b64 v[98:99], 3, v[98:99]
	v_fma_f64 v[100:101], v[102:103], s[2:3], -v[100:101]
	v_add_u32_e32 v102, v108, v6
	v_add_co_u32_e32 v98, vcc, s16, v98
	v_ashrrev_i32_e32 v103, 31, v102
	v_addc_co_u32_e32 v99, vcc, v32, v99, vcc
	v_lshlrev_b64 v[102:103], 3, v[102:103]
	v_add_co_u32_e32 v102, vcc, s16, v102
	v_addc_co_u32_e32 v103, vcc, v32, v103, vcc
	global_load_dwordx2 v[82:83], v[82:83], off
	s_nop 0
	global_load_dwordx2 v[88:89], v[88:89], off
	s_nop 0
	;; [unrolled: 2-line block ×4, first 2 shown]
	buffer_load_dword v6, off, s[36:39], 0 offset:32 ; 4-byte Folded Reload
	buffer_load_dword v7, off, s[36:39], 0 offset:36 ; 4-byte Folded Reload
	buffer_load_dword v48, off, s[36:39], 0 ; 4-byte Folded Reload
	buffer_load_dword v49, off, s[36:39], 0 offset:4 ; 4-byte Folded Reload
	s_waitcnt vmcnt(7)
	v_add_f64 v[2:3], v[2:3], -v[82:83]
	s_waitcnt vmcnt(6)
	v_add_f64 v[108:109], v[82:83], -v[88:89]
	v_mul_f64 v[108:109], v[108:109], s[0:1]
	s_waitcnt vmcnt(4)
	v_add_f64 v[118:119], v[98:99], -v[102:103]
	v_fma_f64 v[108:109], v[118:119], s[2:3], -v[108:109]
	s_waitcnt vmcnt(0)
	v_mul_f64 v[118:119], v[48:49], v[6:7]
	v_mul_f64 v[118:119], v[6:7], v[118:119]
	buffer_load_dword v8, off, s[36:39], 0 offset:80 ; 4-byte Folded Reload
	buffer_load_dword v9, off, s[36:39], 0 offset:84 ; 4-byte Folded Reload
	;; [unrolled: 1-line block ×4, first 2 shown]
	v_mul_f64 v[108:109], v[118:119], v[108:109]
	v_fma_f64 v[0:1], v[2:3], s[2:3], -v[0:1]
	v_add_f64 v[2:3], v[18:19], -v[58:59]
	v_add_f64 v[18:19], v[68:69], -v[88:89]
	v_mul_f64 v[2:3], v[2:3], s[0:1]
	v_fma_f64 v[2:3], v[18:19], s[2:3], -v[2:3]
	v_add_f64 v[18:19], v[80:81], -v[102:103]
	v_add_f64 v[68:69], v[60:61], -v[56:57]
	s_waitcnt vmcnt(0)
	v_mul_f64 v[118:119], v[6:7], v[8:9]
	v_mul_f64 v[118:119], v[8:9], v[118:119]
	v_fma_f64 v[6:7], v[118:119], v[100:101], -v[108:109]
	buffer_store_dword v6, off, s[36:39], 0 offset:308 ; 4-byte Folded Spill
	s_nop 0
	buffer_store_dword v7, off, s[36:39], 0 offset:312 ; 4-byte Folded Spill
	buffer_load_dword v6, off, s[36:39], 0 offset:316 ; 4-byte Folded Reload
	s_nop 0
	buffer_load_dword v7, off, s[36:39], 0 offset:320 ; 4-byte Folded Reload
	s_waitcnt vmcnt(0)
	v_mul_f64 v[2:3], v[6:7], v[2:3]
	buffer_load_dword v6, off, s[36:39], 0 offset:356 ; 4-byte Folded Reload
	buffer_load_dword v7, off, s[36:39], 0 offset:360 ; 4-byte Folded Reload
	s_waitcnt vmcnt(0)
	v_fma_f64 v[0:1], v[6:7], v[0:1], -v[2:3]
	buffer_store_dword v0, off, s[36:39], 0 offset:316 ; 4-byte Folded Spill
	s_nop 0
	buffer_store_dword v1, off, s[36:39], 0 offset:320 ; 4-byte Folded Spill
	buffer_load_dword v6, off, s[36:39], 0 offset:324 ; 4-byte Folded Reload
	buffer_load_dword v7, off, s[36:39], 0 offset:328 ; 4-byte Folded Reload
	v_add_f64 v[0:1], v[20:21], -v[62:63]
	v_add_f64 v[2:3], v[70:71], -v[98:99]
	v_mul_f64 v[0:1], v[0:1], s[0:1]
	v_fma_f64 v[0:1], v[2:3], s[2:3], -v[0:1]
	v_add_f64 v[2:3], v[22:23], -v[64:65]
	v_mul_f64 v[2:3], v[2:3], s[0:1]
	v_fma_f64 v[2:3], v[18:19], s[2:3], -v[2:3]
	s_waitcnt vmcnt(0)
	v_mul_f64 v[2:3], v[6:7], v[2:3]
	buffer_load_dword v6, off, s[36:39], 0 offset:340 ; 4-byte Folded Reload
	buffer_load_dword v7, off, s[36:39], 0 offset:344 ; 4-byte Folded Reload
	s_waitcnt vmcnt(0)
	v_fma_f64 v[0:1], v[6:7], v[0:1], -v[2:3]
	buffer_store_dword v0, off, s[36:39], 0 offset:324 ; 4-byte Folded Spill
	s_nop 0
	buffer_store_dword v1, off, s[36:39], 0 offset:328 ; 4-byte Folded Spill
	buffer_load_dword v2, off, s[36:39], 0 offset:636 ; 4-byte Folded Reload
	buffer_load_dword v3, off, s[36:39], 0 offset:640 ; 4-byte Folded Reload
	global_load_dwordx2 v[22:23], v[38:39], off offset:16
	global_load_dwordx4 v[18:21], v[38:39], off offset:-16
	v_mul_f64 v[0:1], v[78:79], v[24:25]
	s_waitcnt vmcnt(3)
	v_add_co_u32_e32 v2, vcc, s22, v2
	s_waitcnt vmcnt(0)
	v_add_f64 v[6:7], v[22:23], -v[18:19]
	v_mul_f64 v[6:7], v[6:7], s[0:1]
	v_add_f64 v[24:25], v[46:47], -v[20:21]
	v_fma_f64 v[6:7], v[24:25], s[2:3], -v[6:7]
	global_load_dwordx2 v[24:25], v[4:5], off offset:16
	global_load_dwordx4 v[62:65], v[4:5], off offset:-16
	v_addc_co_u32_e32 v3, vcc, v122, v3, vcc
	global_load_dwordx2 v[70:71], v[2:3], off
	v_mul_f64 v[2:3], v[12:13], v[66:67]
	s_waitcnt vmcnt(1)
	v_add_f64 v[4:5], v[24:25], -v[62:63]
	v_mul_f64 v[4:5], v[4:5], s[0:1]
	v_add_f64 v[28:29], v[60:61], -v[64:65]
	v_fma_f64 v[4:5], v[28:29], s[2:3], -v[4:5]
	s_waitcnt vmcnt(0)
	v_mul_f64 v[58:59], v[2:3], v[70:71]
	v_mul_f64 v[2:3], v[58:59], v[4:5]
	;; [unrolled: 1-line block ×5, first 2 shown]
	v_fmac_f64_e32 v[2:3], v[0:1], v[6:7]
	buffer_store_dword v2, off, s[36:39], 0 offset:340 ; 4-byte Folded Spill
	s_nop 0
	buffer_store_dword v3, off, s[36:39], 0 offset:344 ; 4-byte Folded Spill
	buffer_load_dword v0, off, s[36:39], 0 offset:596 ; 4-byte Folded Reload
	buffer_load_dword v1, off, s[36:39], 0 offset:600 ; 4-byte Folded Reload
	;; [unrolled: 1-line block ×6, first 2 shown]
	global_load_dwordx4 v[10:13], v[40:41], off offset:-16
	v_mul_f64 v[2:3], v[106:107], v[34:35]
	global_load_dwordx2 v[34:35], v[114:115], off offset:16
	s_waitcnt vmcnt(7)
	v_add_co_u32_e32 v0, vcc, s22, v0
	s_waitcnt vmcnt(1)
	v_add_f64 v[38:39], v[20:21], -v[12:13]
	global_load_dwordx2 v[20:21], v[40:41], off offset:16
	v_pk_mov_b32 v[4:5], v[6:7], v[6:7] op_sel:[0,1]
	v_addc_co_u32_e32 v1, vcc, v122, v1, vcc
	v_add_f64 v[66:67], v[46:47], -v[4:5]
	v_add_f64 v[4:5], v[4:5], -v[12:13]
	;; [unrolled: 1-line block ×3, first 2 shown]
	global_load_dwordx2 v[48:49], v[0:1], off
	s_waitcnt vmcnt(1)
	v_add_f64 v[6:7], v[20:21], -v[10:11]
	global_load_dwordx4 v[10:13], v[114:115], off offset:-16
	v_mul_f64 v[6:7], v[6:7], s[0:1]
	v_fma_f64 v[4:5], v[4:5], s[2:3], -v[6:7]
	s_waitcnt vmcnt(1)
	v_mul_f64 v[0:1], v[2:3], v[48:49]
	v_mul_f64 v[2:3], v[86:87], v[104:105]
	;; [unrolled: 1-line block ×3, first 2 shown]
	s_waitcnt vmcnt(0)
	v_add_f64 v[28:29], v[62:63], -v[10:11]
	v_add_f64 v[10:11], v[34:35], -v[10:11]
	;; [unrolled: 1-line block ×3, first 2 shown]
	v_mul_f64 v[10:11], v[10:11], s[0:1]
	v_fma_f64 v[6:7], v[6:7], s[2:3], -v[10:11]
	v_mul_f64 v[2:3], v[60:61], v[6:7]
	v_mul_f64 v[2:3], v[72:73], v[2:3]
	;; [unrolled: 1-line block ×3, first 2 shown]
	v_fmac_f64_e32 v[2:3], v[0:1], v[4:5]
	buffer_store_dword v2, off, s[36:39], 0 offset:356 ; 4-byte Folded Spill
	s_nop 0
	buffer_store_dword v3, off, s[36:39], 0 offset:360 ; 4-byte Folded Spill
	buffer_load_dword v0, off, s[36:39], 0 offset:620 ; 4-byte Folded Reload
	buffer_load_dword v1, off, s[36:39], 0 offset:624 ; 4-byte Folded Reload
	v_mul_f64 v[10:11], v[116:117], v[30:31]
	global_load_dwordx2 v[30:31], v[36:37], off offset:16
	global_load_dwordx4 v[6:9], v[36:37], off offset:-16
	buffer_load_dword v44, off, s[36:39], 0 offset:604 ; 4-byte Folded Reload
	buffer_load_dword v45, off, s[36:39], 0 offset:608 ; 4-byte Folded Reload
	;; [unrolled: 1-line block ×4, first 2 shown]
	v_add_f64 v[62:63], v[64:65], -v[12:13]
	s_waitcnt vmcnt(7)
	v_add_co_u32_e32 v4, vcc, s22, v0
	s_waitcnt vmcnt(6)
	v_addc_co_u32_e32 v5, vcc, v122, v1, vcc
	s_waitcnt vmcnt(4)
	v_add_f64 v[0:1], v[30:31], -v[6:7]
	s_waitcnt vmcnt(0)
	v_pk_mov_b32 v[26:27], v[46:47], v[46:47] op_sel:[0,1]
	v_mul_f64 v[0:1], v[0:1], s[0:1]
	v_add_f64 v[2:3], v[26:27], -v[8:9]
	v_fma_f64 v[12:13], v[2:3], s[2:3], -v[0:1]
	global_load_dwordx2 v[36:37], v[14:15], off offset:16
	global_load_dwordx4 v[0:3], v[14:15], off offset:-16
	global_load_dwordx2 v[16:17], v[4:5], off
	s_waitcnt vmcnt(1)
	v_add_f64 v[14:15], v[36:37], -v[0:1]
	v_mul_f64 v[14:15], v[14:15], s[0:1]
	v_add_f64 v[46:47], v[54:55], -v[2:3]
	s_waitcnt vmcnt(0)
	v_mul_f64 v[4:5], v[10:11], v[16:17]
	v_mul_f64 v[10:11], v[92:93], v[94:95]
	v_fma_f64 v[14:15], v[46:47], s[2:3], -v[14:15]
	v_mul_f64 v[94:95], v[10:11], v[16:17]
	v_mul_f64 v[10:11], v[94:95], v[14:15]
	;; [unrolled: 1-line block ×4, first 2 shown]
	v_pk_mov_b32 v[82:83], v[16:17], v[16:17] op_sel:[0,1]
	v_fmac_f64_e32 v[10:11], v[4:5], v[12:13]
	buffer_store_dword v82, off, s[36:39], 0 offset:512 ; 4-byte Folded Spill
	s_nop 0
	buffer_store_dword v83, off, s[36:39], 0 offset:516 ; 4-byte Folded Spill
	buffer_store_dword v10, off, s[36:39], 0 offset:364 ; 4-byte Folded Spill
	s_nop 0
	buffer_store_dword v11, off, s[36:39], 0 offset:368 ; 4-byte Folded Spill
	buffer_load_dword v4, off, s[36:39], 0 offset:572 ; 4-byte Folded Reload
	buffer_load_dword v5, off, s[36:39], 0 offset:576 ; 4-byte Folded Reload
	s_nop 0
	buffer_load_dword v10, off, s[36:39], 0 offset:628 ; 4-byte Folded Reload
	buffer_load_dword v11, off, s[36:39], 0 offset:632 ; 4-byte Folded Reload
	v_pk_mov_b32 v[44:45], v[72:73], v[72:73] op_sel:[0,1]
	v_pk_mov_b32 v[46:47], v[74:75], v[74:75] op_sel:[0,1]
	v_add_f64 v[74:75], v[54:55], -v[50:51]
	s_waitcnt vmcnt(3)
	v_add_co_u32_e32 v4, vcc, s22, v4
	s_waitcnt vmcnt(0)
	v_mul_f64 v[14:15], v[10:11], v[90:91]
	buffer_load_dword v10, off, s[36:39], 0 offset:556 ; 4-byte Folded Reload
	buffer_load_dword v11, off, s[36:39], 0 offset:560 ; 4-byte Folded Reload
	;; [unrolled: 1-line block ×4, first 2 shown]
	v_addc_co_u32_e32 v5, vcc, v122, v5, vcc
	s_waitcnt vmcnt(0)
	v_pk_mov_b32 v[16:17], v[12:13], v[12:13] op_sel:[0,1]
	global_load_dwordx4 v[10:13], v[76:77], off offset:-16
	v_add_f64 v[72:73], v[26:27], -v[16:17]
	s_waitcnt vmcnt(0)
	v_add_f64 v[26:27], v[16:17], -v[12:13]
	v_add_f64 v[64:65], v[8:9], -v[12:13]
	global_load_dwordx2 v[12:13], v[76:77], off offset:16
	v_add_f64 v[40:41], v[6:7], -v[10:11]
	s_waitcnt vmcnt(0)
	v_add_f64 v[6:7], v[12:13], -v[10:11]
	v_mul_f64 v[6:7], v[6:7], s[0:1]
	v_fma_f64 v[10:11], v[26:27], s[2:3], -v[6:7]
	global_load_dwordx4 v[6:9], v[120:121], off offset:-16
	s_waitcnt vmcnt(0)
	v_add_f64 v[26:27], v[2:3], -v[8:9]
	global_load_dwordx2 v[2:3], v[120:121], off offset:16
	v_add_f64 v[0:1], v[0:1], -v[6:7]
	v_add_f64 v[16:17], v[50:51], -v[8:9]
	s_waitcnt vmcnt(0)
	v_add_f64 v[6:7], v[2:3], -v[6:7]
	v_mul_f64 v[6:7], v[6:7], s[0:1]
	v_fma_f64 v[6:7], v[16:17], s[2:3], -v[6:7]
	global_load_dwordx2 v[16:17], v[4:5], off
	buffer_load_dword v8, off, s[36:39], 0 offset:48 ; 4-byte Folded Reload
	buffer_load_dword v9, off, s[36:39], 0 offset:52 ; 4-byte Folded Reload
	v_add_f64 v[2:3], v[36:37], -v[2:3]
	s_waitcnt vmcnt(2)
	v_mul_f64 v[4:5], v[14:15], v[16:17]
	s_waitcnt vmcnt(0)
	v_mul_f64 v[8:9], v[8:9], v[110:111]
	v_mul_f64 v[50:51], v[8:9], v[16:17]
	;; [unrolled: 1-line block ×5, first 2 shown]
	v_pk_mov_b32 v[116:117], v[16:17], v[16:17] op_sel:[0,1]
	v_fmac_f64_e32 v[6:7], v[4:5], v[10:11]
	buffer_store_dword v116, off, s[36:39], 0 offset:520 ; 4-byte Folded Spill
	s_nop 0
	buffer_store_dword v117, off, s[36:39], 0 offset:524 ; 4-byte Folded Spill
	buffer_store_dword v6, off, s[36:39], 0 offset:376 ; 4-byte Folded Spill
	s_nop 0
	buffer_store_dword v7, off, s[36:39], 0 offset:380 ; 4-byte Folded Spill
	buffer_load_dword v16, off, s[36:39], 0 offset:548 ; 4-byte Folded Reload
	buffer_load_dword v17, off, s[36:39], 0 offset:552 ; 4-byte Folded Reload
	v_add_f64 v[4:5], v[22:23], -v[20:21]
	v_add_f64 v[6:7], v[30:31], -v[12:13]
	v_mul_f64 v[4:5], v[4:5], s[0:1]
	v_fma_f64 v[4:5], v[6:7], s[2:3], -v[4:5]
	s_waitcnt vmcnt(0)
	global_load_dwordx2 v[6:7], v[16:17], off offset:16
	buffer_load_dword v10, off, s[36:39], 0 offset:504 ; 4-byte Folded Reload
	buffer_load_dword v11, off, s[36:39], 0 offset:508 ; 4-byte Folded Reload
	;; [unrolled: 1-line block ×4, first 2 shown]
	s_waitcnt vmcnt(2)
	v_mul_f64 v[6:7], v[10:11], v[6:7]
	s_waitcnt vmcnt(0)
	global_load_dwordx2 v[8:9], v[12:13], off offset:16
	s_waitcnt vmcnt(0)
	v_mul_f64 v[8:9], v[10:11], v[8:9]
	buffer_load_dword v10, off, s[36:39], 0 offset:496 ; 4-byte Folded Reload
	buffer_load_dword v11, off, s[36:39], 0 offset:500 ; 4-byte Folded Reload
	s_waitcnt vmcnt(0)
	v_mul_f64 v[6:7], v[10:11], v[6:7]
	v_mul_f64 v[8:9], v[10:11], v[8:9]
	v_add_f64 v[10:11], v[24:25], -v[34:35]
	v_mul_f64 v[10:11], v[10:11], s[0:1]
	v_fma_f64 v[2:3], v[2:3], s[2:3], -v[10:11]
	v_mul_f64 v[2:3], v[2:3], v[8:9]
	buffer_load_dword v8, off, s[36:39], 0 offset:488 ; 4-byte Folded Reload
	buffer_load_dword v9, off, s[36:39], 0 offset:492 ; 4-byte Folded Reload
	s_waitcnt vmcnt(0)
	v_mul_f64 v[2:3], v[8:9], v[2:3]
	v_mul_f64 v[56:57], v[84:85], v[2:3]
	v_mul_f64 v[2:3], v[18:19], s[0:1]
	v_fma_f64 v[54:55], v[40:41], s[2:3], -v[2:3]
	v_mul_f64 v[2:3], v[28:29], s[0:1]
	v_fmac_f64_e32 v[56:57], v[4:5], v[6:7]
	v_fma_f64 v[0:1], v[0:1], s[2:3], -v[2:3]
	global_load_dwordx4 v[2:5], v[12:13], off offset:-16
	buffer_load_dword v10, off, s[36:39], 0 offset:384 ; 4-byte Folded Reload
	buffer_load_dword v11, off, s[36:39], 0 offset:388 ; 4-byte Folded Reload
	s_nop 0
	buffer_load_dword v12, off, s[36:39], 0 offset:392 ; 4-byte Folded Reload
	buffer_load_dword v13, off, s[36:39], 0 offset:396 ; 4-byte Folded Reload
	;; [unrolled: 1-line block ×4, first 2 shown]
	global_load_dwordx4 v[6:9], v[16:17], off offset:-16
	s_waitcnt vmcnt(5)
	v_mul_f64 v[2:3], v[10:11], v[2:3]
	s_waitcnt vmcnt(3)
	v_mul_f64 v[2:3], v[12:13], v[2:3]
	v_mul_f64 v[0:1], v[0:1], v[2:3]
	s_waitcnt vmcnt(0)
	v_mul_f64 v[2:3], v[10:11], v[6:7]
	v_pk_mov_b32 v[10:11], v[12:13], v[12:13] op_sel:[0,1]
	v_pk_mov_b32 v[12:13], v[14:15], v[14:15] op_sel:[0,1]
	buffer_load_dword v14, off, s[36:39], 0 offset:196 ; 4-byte Folded Reload
	buffer_load_dword v15, off, s[36:39], 0 offset:200 ; 4-byte Folded Reload
	;; [unrolled: 1-line block ×4, first 2 shown]
	v_mul_f64 v[2:3], v[10:11], v[2:3]
	s_waitcnt vmcnt(2)
	v_mul_f64 v[0:1], v[14:15], v[0:1]
	v_mul_f64 v[44:45], v[84:85], v[0:1]
	v_fmac_f64_e32 v[44:45], v[54:55], v[2:3]
	buffer_load_dword v2, off, s[36:39], 0 offset:188 ; 4-byte Folded Reload
	buffer_load_dword v3, off, s[36:39], 0 offset:192 ; 4-byte Folded Reload
	;; [unrolled: 1-line block ×6, first 2 shown]
	s_waitcnt vmcnt(4)
	v_mul_f64 v[0:1], v[2:3], v[42:43]
	s_waitcnt vmcnt(0)
	v_mul_f64 v[2:3], v[2:3], v[20:21]
	buffer_load_dword v18, off, s[36:39], 0 offset:212 ; 4-byte Folded Reload
	buffer_load_dword v19, off, s[36:39], 0 offset:216 ; 4-byte Folded Reload
	;; [unrolled: 1-line block ×4, first 2 shown]
	s_waitcnt vmcnt(0)
	v_pk_mov_b32 v[6:7], v[20:21], v[20:21] op_sel:[0,1]
	v_mul_f64 v[0:1], v[6:7], v[0:1]
	v_mul_f64 v[2:3], v[6:7], v[2:3]
	;; [unrolled: 1-line block ×3, first 2 shown]
	v_fma_f64 v[6:7], v[74:75], s[2:3], -v[6:7]
	v_mul_f64 v[2:3], v[6:7], v[2:3]
	v_mul_f64 v[2:3], v[46:47], v[2:3]
	;; [unrolled: 1-line block ×3, first 2 shown]
	buffer_load_dword v2, off, s[36:39], 0 offset:168 ; 4-byte Folded Reload
	buffer_load_dword v3, off, s[36:39], 0 offset:172 ; 4-byte Folded Reload
	v_mul_f64 v[6:7], v[66:67], s[0:1]
	v_fma_f64 v[6:7], v[72:73], s[2:3], -v[6:7]
	v_fmac_f64_e32 v[42:43], v[6:7], v[0:1]
	s_waitcnt vmcnt(0)
	v_mul_f64 v[0:1], v[2:3], v[8:9]
	v_mul_f64 v[2:3], v[2:3], v[4:5]
	v_pk_mov_b32 v[4:5], v[12:13], v[12:13] op_sel:[0,1]
	v_mul_f64 v[0:1], v[4:5], v[0:1]
	v_mul_f64 v[2:3], v[4:5], v[2:3]
	;; [unrolled: 1-line block ×3, first 2 shown]
	v_fma_f64 v[4:5], v[26:27], s[2:3], -v[4:5]
	v_mul_f64 v[2:3], v[4:5], v[2:3]
	v_mul_f64 v[2:3], v[16:17], v[2:3]
	;; [unrolled: 1-line block ×3, first 2 shown]
	v_fma_f64 v[4:5], v[64:65], s[2:3], -v[4:5]
	v_mul_f64 v[46:47], v[84:85], v[2:3]
	v_fmac_f64_e32 v[46:47], v[4:5], v[0:1]
	buffer_load_dword v33, off, s[36:39], 0 offset:416 ; 4-byte Folded Reload
	buffer_load_dword v5, off, s[36:39], 0 offset:444 ; 4-byte Folded Reload
	;; [unrolled: 1-line block ×5, first 2 shown]
	s_waitcnt vmcnt(3)
	v_add3_u32 v0, v33, v5, s6
	v_ashrrev_i32_e32 v1, 31, v0
	v_lshlrev_b64 v[2:3], 3, v[0:1]
	s_waitcnt vmcnt(2)
	v_add3_u32 v4, v15, v5, s6
	v_add_co_u32_e32 v2, vcc, s16, v2
	v_mov_b32_e32 v1, v5
	v_ashrrev_i32_e32 v5, 31, v4
	v_addc_co_u32_e32 v3, vcc, v32, v3, vcc
	v_lshlrev_b64 v[6:7], 3, v[4:5]
	s_waitcnt vmcnt(1)
	v_add3_u32 v8, v16, v1, s6
	v_add_co_u32_e32 v6, vcc, s16, v6
	v_ashrrev_i32_e32 v9, 31, v8
	v_addc_co_u32_e32 v7, vcc, v32, v7, vcc
	v_lshlrev_b64 v[10:11], 3, v[8:9]
	s_waitcnt vmcnt(0)
	v_add3_u32 v12, v14, v1, s6
	v_add_co_u32_e32 v10, vcc, s16, v10
	v_ashrrev_i32_e32 v13, 31, v12
	v_addc_co_u32_e32 v11, vcc, v32, v11, vcc
	v_lshlrev_b64 v[18:19], 3, v[12:13]
	v_add_co_u32_e32 v18, vcc, s16, v18
	v_addc_co_u32_e32 v19, vcc, v32, v19, vcc
	global_load_dwordx2 v[104:105], v[2:3], off
	global_load_dwordx2 v[92:93], v[6:7], off
	;; [unrolled: 1-line block ×3, first 2 shown]
	s_nop 0
	global_load_dwordx2 v[6:7], v[18:19], off
	s_waitcnt vmcnt(0)
	buffer_store_dword v6, off, s[36:39], 0 offset:168 ; 4-byte Folded Spill
	s_nop 0
	buffer_store_dword v7, off, s[36:39], 0 offset:172 ; 4-byte Folded Spill
	v_add_u32_e32 v64, s6, v0
	v_ashrrev_i32_e32 v65, 31, v64
	v_lshlrev_b64 v[0:1], 3, v[64:65]
	v_add_u32_e32 v68, s6, v4
	v_add_co_u32_e32 v0, vcc, s16, v0
	v_ashrrev_i32_e32 v69, 31, v68
	v_add_f64 v[2:3], v[104:105], -v[92:93]
	v_addc_co_u32_e32 v1, vcc, v32, v1, vcc
	v_lshlrev_b64 v[4:5], 3, v[68:69]
	v_add_u32_e32 v72, s6, v8
	v_mul_f64 v[2:3], v[2:3], s[0:1]
	v_add_co_u32_e32 v4, vcc, s16, v4
	v_ashrrev_i32_e32 v73, 31, v72
	v_addc_co_u32_e32 v5, vcc, v32, v5, vcc
	v_add_u32_e32 v90, s6, v12
	v_ashrrev_i32_e32 v91, 31, v90
	v_lshlrev_b64 v[8:9], 3, v[90:91]
	v_mov_b32_e32 v12, v15
	v_mov_b32_e32 v13, v16
	v_add_f64 v[6:7], v[62:63], -v[6:7]
	v_fma_f64 v[2:3], v[6:7], s[2:3], -v[2:3]
	v_lshlrev_b64 v[6:7], 3, v[72:73]
	v_add_co_u32_e32 v6, vcc, s16, v6
	v_addc_co_u32_e32 v7, vcc, v32, v7, vcc
	v_add_co_u32_e32 v8, vcc, s16, v8
	v_addc_co_u32_e32 v9, vcc, v32, v9, vcc
	global_load_dwordx2 v[118:119], v[0:1], off
	global_load_dwordx2 v[106:107], v[4:5], off
	;; [unrolled: 1-line block ×3, first 2 shown]
	s_nop 0
	global_load_dwordx2 v[4:5], v[8:9], off
	s_waitcnt vmcnt(0)
	buffer_store_dword v4, off, s[36:39], 0 offset:188 ; 4-byte Folded Spill
	s_nop 0
	buffer_store_dword v5, off, s[36:39], 0 offset:192 ; 4-byte Folded Spill
	v_add_f64 v[0:1], v[118:119], -v[106:107]
	v_mul_f64 v[0:1], v[0:1], s[0:1]
	v_add_f64 v[4:5], v[96:97], -v[4:5]
	v_fma_f64 v[0:1], v[4:5], s[2:3], -v[0:1]
	buffer_load_dword v4, off, s[36:39], 0 offset:448 ; 4-byte Folded Reload
	buffer_load_dword v5, off, s[36:39], 0 offset:452 ; 4-byte Folded Reload
	;; [unrolled: 1-line block ×6, first 2 shown]
	s_waitcnt vmcnt(4)
	v_mul_f64 v[4:5], v[4:5], v[70:71]
	v_mul_f64 v[0:1], v[4:5], v[0:1]
	buffer_load_dword v5, off, s[36:39], 0 offset:432 ; 4-byte Folded Reload
	s_waitcnt vmcnt(3)
	v_mul_f64 v[0:1], v[26:27], v[0:1]
	v_mul_f64 v[40:41], v[124:125], v[0:1]
	v_fmac_f64_e32 v[40:41], v[58:59], v[2:3]
	s_waitcnt vmcnt(0)
	v_add3_u32 v0, v33, v5, s6
	v_ashrrev_i32_e32 v1, 31, v0
	v_lshlrev_b64 v[2:3], 3, v[0:1]
	v_add3_u32 v4, v15, v5, s6
	v_add_co_u32_e32 v2, vcc, s16, v2
	v_mov_b32_e32 v1, v5
	v_ashrrev_i32_e32 v5, 31, v4
	v_addc_co_u32_e32 v3, vcc, v32, v3, vcc
	v_lshlrev_b64 v[6:7], 3, v[4:5]
	v_add3_u32 v8, v16, v1, s6
	v_add_co_u32_e32 v6, vcc, s16, v6
	v_ashrrev_i32_e32 v9, 31, v8
	v_addc_co_u32_e32 v7, vcc, v32, v7, vcc
	v_lshlrev_b64 v[10:11], 3, v[8:9]
	v_add3_u32 v18, v14, v1, s6
	v_add_co_u32_e32 v10, vcc, s16, v10
	v_ashrrev_i32_e32 v19, 31, v18
	v_addc_co_u32_e32 v11, vcc, v32, v11, vcc
	v_lshlrev_b64 v[20:21], 3, v[18:19]
	v_add_co_u32_e32 v20, vcc, s16, v20
	v_addc_co_u32_e32 v21, vcc, v32, v21, vcc
	global_load_dwordx2 v[84:85], v[2:3], off
	global_load_dwordx2 v[110:111], v[6:7], off
	;; [unrolled: 1-line block ×3, first 2 shown]
	s_nop 0
	global_load_dwordx2 v[6:7], v[20:21], off
	s_waitcnt vmcnt(0)
	buffer_store_dword v6, off, s[36:39], 0 offset:196 ; 4-byte Folded Spill
	s_nop 0
	buffer_store_dword v7, off, s[36:39], 0 offset:200 ; 4-byte Folded Spill
	v_add_u32_e32 v66, s6, v0
	v_ashrrev_i32_e32 v67, 31, v66
	v_add_f64 v[2:3], v[84:85], -v[110:111]
	v_lshlrev_b64 v[0:1], 3, v[66:67]
	v_add_u32_e32 v120, s6, v4
	v_mul_f64 v[2:3], v[2:3], s[0:1]
	v_add_co_u32_e32 v0, vcc, s16, v0
	v_ashrrev_i32_e32 v121, 31, v120
	v_addc_co_u32_e32 v1, vcc, v32, v1, vcc
	v_add_u32_e32 v98, s6, v8
	v_ashrrev_i32_e32 v99, 31, v98
	v_add_u32_e32 v38, s6, v18
	v_ashrrev_i32_e32 v39, 31, v38
	v_mov_b32_e32 v9, v14
	v_pk_mov_b32 v[14:15], v[26:27], v[26:27] op_sel:[0,1]
	v_pk_mov_b32 v[16:17], v[28:29], v[28:29] op_sel:[0,1]
	v_add_f64 v[10:11], v[34:35], -v[6:7]
	v_fma_f64 v[10:11], v[10:11], s[2:3], -v[2:3]
	v_lshlrev_b64 v[2:3], 3, v[120:121]
	v_add_co_u32_e32 v4, vcc, s16, v2
	v_addc_co_u32_e32 v5, vcc, v32, v3, vcc
	v_lshlrev_b64 v[2:3], 3, v[98:99]
	v_add_co_u32_e32 v20, vcc, s16, v2
	v_addc_co_u32_e32 v21, vcc, v32, v3, vcc
	;; [unrolled: 3-line block ×3, first 2 shown]
	global_load_dwordx2 v[24:25], v[0:1], off
	global_load_dwordx2 v[88:89], v[4:5], off
	s_nop 0
	global_load_dwordx2 v[20:21], v[20:21], off
	s_nop 0
	global_load_dwordx2 v[2:3], v[18:19], off
	s_waitcnt vmcnt(0)
	buffer_store_dword v2, off, s[36:39], 0 offset:212 ; 4-byte Folded Spill
	s_nop 0
	buffer_store_dword v3, off, s[36:39], 0 offset:216 ; 4-byte Folded Spill
	v_add_f64 v[0:1], v[24:25], -v[88:89]
	v_mul_f64 v[0:1], v[0:1], s[0:1]
	v_add_f64 v[4:5], v[20:21], -v[2:3]
	buffer_load_dword v2, off, s[36:39], 0 offset:436 ; 4-byte Folded Reload
	buffer_load_dword v3, off, s[36:39], 0 offset:440 ; 4-byte Folded Reload
	v_fma_f64 v[0:1], v[4:5], s[2:3], -v[0:1]
	s_waitcnt vmcnt(0)
	v_mul_f64 v[4:5], v[2:3], v[48:49]
	buffer_load_dword v2, off, s[36:39], 0 offset:420 ; 4-byte Folded Reload
	v_mul_f64 v[0:1], v[4:5], v[0:1]
	v_mul_f64 v[0:1], v[26:27], v[0:1]
	;; [unrolled: 1-line block ×3, first 2 shown]
	v_fmac_f64_e32 v[36:37], v[60:61], v[10:11]
	s_waitcnt vmcnt(0)
	v_add3_u32 v0, v33, v2, s6
	v_ashrrev_i32_e32 v1, 31, v0
	v_lshlrev_b64 v[4:5], 3, v[0:1]
	v_add3_u32 v10, v12, v2, s6
	v_add_co_u32_e32 v4, vcc, s16, v4
	v_ashrrev_i32_e32 v11, 31, v10
	v_addc_co_u32_e32 v5, vcc, v32, v5, vcc
	v_lshlrev_b64 v[18:19], 3, v[10:11]
	v_add3_u32 v22, v13, v2, s6
	v_add_co_u32_e32 v18, vcc, s16, v18
	v_ashrrev_i32_e32 v23, 31, v22
	v_addc_co_u32_e32 v19, vcc, v32, v19, vcc
	;; [unrolled: 5-line block ×3, first 2 shown]
	v_lshlrev_b64 v[28:29], 3, v[54:55]
	v_add_co_u32_e32 v28, vcc, s16, v28
	v_addc_co_u32_e32 v29, vcc, v32, v29, vcc
	global_load_dwordx2 v[78:79], v[4:5], off
	global_load_dwordx2 v[60:61], v[18:19], off
	;; [unrolled: 1-line block ×4, first 2 shown]
	v_add_u32_e32 v28, s6, v10
	v_ashrrev_i32_e32 v29, 31, v28
	v_lshlrev_b64 v[10:11], 3, v[28:29]
	v_add_u32_e32 v126, s6, v22
	v_ashrrev_i32_e32 v127, 31, v126
	v_add_u32_e32 v30, s6, v54
	v_ashrrev_i32_e32 v31, 31, v30
	v_lshlrev_b64 v[54:55], 3, v[30:31]
	s_waitcnt vmcnt(2)
	v_add_f64 v[4:5], v[78:79], -v[60:61]
	v_mul_f64 v[4:5], v[4:5], s[0:1]
	s_waitcnt vmcnt(0)
	v_add_f64 v[18:19], v[74:75], -v[112:113]
	v_fma_f64 v[4:5], v[18:19], s[2:3], -v[4:5]
	v_add_u32_e32 v18, s6, v0
	v_ashrrev_i32_e32 v19, 31, v18
	v_lshlrev_b64 v[0:1], 3, v[18:19]
	v_add_co_u32_e32 v0, vcc, s16, v0
	v_addc_co_u32_e32 v1, vcc, v32, v1, vcc
	v_add_co_u32_e32 v26, vcc, s16, v10
	v_addc_co_u32_e32 v27, vcc, v32, v11, vcc
	v_lshlrev_b64 v[10:11], 3, v[126:127]
	v_add_co_u32_e32 v22, vcc, s16, v10
	v_addc_co_u32_e32 v23, vcc, v32, v11, vcc
	v_add_co_u32_e32 v54, vcc, s16, v54
	v_addc_co_u32_e32 v55, vcc, v32, v55, vcc
	global_load_dwordx2 v[114:115], v[0:1], off
	global_load_dwordx2 v[80:81], v[26:27], off
	;; [unrolled: 1-line block ×3, first 2 shown]
	s_nop 0
	global_load_dwordx2 v[22:23], v[54:55], off
	buffer_load_dword v2, off, s[36:39], 0 offset:424 ; 4-byte Folded Reload
	buffer_load_dword v3, off, s[36:39], 0 offset:428 ; 4-byte Folded Reload
	s_waitcnt vmcnt(4)
	v_add_f64 v[0:1], v[114:115], -v[80:81]
	v_mul_f64 v[0:1], v[0:1], s[0:1]
	s_waitcnt vmcnt(2)
	v_add_f64 v[26:27], v[76:77], -v[22:23]
	v_fma_f64 v[0:1], v[26:27], s[2:3], -v[0:1]
	s_waitcnt vmcnt(0)
	v_mul_f64 v[26:27], v[2:3], v[82:83]
	buffer_load_dword v2, off, s[36:39], 0 offset:372 ; 4-byte Folded Reload
	v_mul_f64 v[0:1], v[26:27], v[0:1]
	v_mul_f64 v[0:1], v[14:15], v[0:1]
	v_mul_f64 v[26:27], v[124:125], v[0:1]
	v_fmac_f64_e32 v[26:27], v[94:95], v[4:5]
	s_waitcnt vmcnt(0)
	v_add3_u32 v0, v33, v2, s6
	v_ashrrev_i32_e32 v1, 31, v0
	v_lshlrev_b64 v[4:5], 3, v[0:1]
	v_add3_u32 v58, v12, v2, s6
	v_add_co_u32_e32 v4, vcc, s16, v4
	v_ashrrev_i32_e32 v59, 31, v58
	v_addc_co_u32_e32 v5, vcc, v32, v5, vcc
	v_lshlrev_b64 v[54:55], 3, v[58:59]
	v_add3_u32 v94, v13, v2, s6
	v_add_co_u32_e32 v54, vcc, s16, v54
	v_ashrrev_i32_e32 v95, 31, v94
	v_addc_co_u32_e32 v55, vcc, v32, v55, vcc
	;; [unrolled: 5-line block ×3, first 2 shown]
	v_lshlrev_b64 v[86:87], 3, v[108:109]
	v_add_co_u32_e32 v86, vcc, s16, v86
	v_addc_co_u32_e32 v87, vcc, v32, v87, vcc
	global_load_dwordx2 v[8:9], v[4:5], off
	global_load_dwordx2 v[102:103], v[54:55], off
	;; [unrolled: 1-line block ×3, first 2 shown]
	s_nop 0
	global_load_dwordx2 v[54:55], v[86:87], off
	v_add_u32_e32 v94, s6, v94
	v_ashrrev_i32_e32 v95, 31, v94
	v_add_u32_e32 v12, s6, v108
	v_ashrrev_i32_e32 v13, 31, v12
	v_lshlrev_b64 v[108:109], 3, v[12:13]
	s_waitcnt vmcnt(2)
	v_add_f64 v[82:83], v[8:9], -v[102:103]
	v_mul_f64 v[82:83], v[82:83], s[0:1]
	s_waitcnt vmcnt(0)
	v_add_f64 v[86:87], v[100:101], -v[54:55]
	v_fma_f64 v[10:11], v[86:87], s[2:3], -v[82:83]
	v_add_u32_e32 v82, s6, v0
	v_ashrrev_i32_e32 v83, 31, v82
	v_lshlrev_b64 v[0:1], 3, v[82:83]
	v_add_u32_e32 v86, s6, v58
	v_add_co_u32_e32 v4, vcc, s16, v0
	v_ashrrev_i32_e32 v87, 31, v86
	v_addc_co_u32_e32 v5, vcc, v32, v1, vcc
	v_lshlrev_b64 v[6:7], 3, v[86:87]
	v_add_co_u32_e32 v58, vcc, s16, v6
	v_addc_co_u32_e32 v59, vcc, v32, v7, vcc
	v_lshlrev_b64 v[6:7], 3, v[94:95]
	v_add_co_u32_e32 v2, vcc, s16, v6
	v_addc_co_u32_e32 v3, vcc, v32, v7, vcc
	v_add_co_u32_e32 v0, vcc, s16, v108
	v_addc_co_u32_e32 v1, vcc, v32, v109, vcc
	global_load_dwordx2 v[4:5], v[4:5], off
	s_nop 0
	global_load_dwordx2 v[6:7], v[58:59], off
	global_load_dwordx2 v[108:109], v[2:3], off
	s_nop 0
	global_load_dwordx2 v[58:59], v[0:1], off
	v_add_f64 v[8:9], v[78:79], -v[8:9]
	s_waitcnt vmcnt(2)
	v_add_f64 v[0:1], v[4:5], -v[6:7]
	v_mul_f64 v[0:1], v[0:1], s[0:1]
	s_waitcnt vmcnt(0)
	v_add_f64 v[2:3], v[108:109], -v[58:59]
	v_fma_f64 v[0:1], v[2:3], s[2:3], -v[0:1]
	buffer_load_dword v2, off, s[36:39], 0 offset:408 ; 4-byte Folded Reload
	buffer_load_dword v3, off, s[36:39], 0 offset:412 ; 4-byte Folded Reload
	v_add_f64 v[4:5], v[114:115], -v[4:5]
	v_add_f64 v[6:7], v[80:81], -v[6:7]
	s_waitcnt vmcnt(0)
	v_mul_f64 v[2:3], v[2:3], v[116:117]
	v_mul_f64 v[0:1], v[2:3], v[0:1]
	v_add_f64 v[2:3], v[104:105], -v[84:85]
	v_mul_f64 v[0:1], v[14:15], v[0:1]
	v_mul_f64 v[2:3], v[2:3], s[0:1]
	v_mul_f64 v[116:117], v[124:125], v[0:1]
	buffer_load_dword v0, off, s[36:39], 0 offset:276 ; 4-byte Folded Reload
	buffer_load_dword v1, off, s[36:39], 0 offset:280 ; 4-byte Folded Reload
	v_fma_f64 v[2:3], v[8:9], s[2:3], -v[2:3]
	buffer_load_dword v8, off, s[36:39], 0 offset:248 ; 4-byte Folded Reload
	v_fmac_f64_e32 v[116:117], v[50:51], v[10:11]
	s_waitcnt vmcnt(2)
	v_add_co_u32_e32 v0, vcc, s22, v0
	s_waitcnt vmcnt(0)
	v_add_u32_e32 v84, s4, v8
	v_ashrrev_i32_e32 v85, 31, v84
	v_addc_co_u32_e32 v1, vcc, v122, v1, vcc
	v_lshlrev_b64 v[8:9], 3, v[84:85]
	v_add_co_u32_e32 v8, vcc, s22, v8
	v_addc_co_u32_e32 v9, vcc, v122, v9, vcc
	global_load_dwordx2 v[8:9], v[8:9], off
	s_nop 0
	buffer_load_dword v10, off, s[36:39], 0 offset:252 ; 4-byte Folded Reload
	buffer_load_dword v11, off, s[36:39], 0 offset:256 ; 4-byte Folded Reload
	s_waitcnt vmcnt(0)
	v_mul_f64 v[8:9], v[10:11], v[8:9]
	v_add_f64 v[10:11], v[118:119], -v[24:25]
	v_mul_f64 v[10:11], v[10:11], s[0:1]
	v_fma_f64 v[4:5], v[4:5], s[2:3], -v[10:11]
	buffer_load_dword v10, off, s[36:39], 0 offset:72 ; 4-byte Folded Reload
	buffer_load_dword v11, off, s[36:39], 0 offset:76 ; 4-byte Folded Reload
	s_waitcnt vmcnt(0)
	v_mul_f64 v[8:9], v[10:11], v[8:9]
	v_mul_f64 v[4:5], v[4:5], v[8:9]
	buffer_load_dword v8, off, s[36:39], 0 offset:260 ; 4-byte Folded Reload
	buffer_load_dword v9, off, s[36:39], 0 offset:264 ; 4-byte Folded Reload
	s_waitcnt vmcnt(0)
	v_mul_f64 v[4:5], v[8:9], v[4:5]
	global_load_dwordx2 v[0:1], v[0:1], off
	s_nop 0
	buffer_load_dword v118, off, s[36:39], 0 offset:56 ; 4-byte Folded Reload
	buffer_load_dword v119, off, s[36:39], 0 offset:60 ; 4-byte Folded Reload
	s_waitcnt vmcnt(0)
	v_mul_f64 v[0:1], v[118:119], v[0:1]
	v_mul_f64 v[0:1], v[10:11], v[0:1]
	v_pk_mov_b32 v[10:11], v[124:125], v[124:125] op_sel:[0,1]
	v_mul_f64 v[50:51], v[10:11], v[4:5]
	v_fmac_f64_e32 v[50:51], v[2:3], v[0:1]
	v_add_f64 v[2:3], v[92:93], -v[110:111]
	v_add_f64 v[4:5], v[60:61], -v[102:103]
	v_mul_f64 v[2:3], v[2:3], s[0:1]
	buffer_load_dword v0, off, s[36:39], 0 offset:232 ; 4-byte Folded Reload
	buffer_load_dword v1, off, s[36:39], 0 offset:236 ; 4-byte Folded Reload
	v_fma_f64 v[2:3], v[4:5], s[2:3], -v[2:3]
	buffer_load_dword v4, off, s[36:39], 0 offset:228 ; 4-byte Folded Reload
	s_waitcnt vmcnt(2)
	v_add_co_u32_e32 v0, vcc, s22, v0
	s_waitcnt vmcnt(0)
	v_add_u32_e32 v78, s4, v4
	v_ashrrev_i32_e32 v79, 31, v78
	v_addc_co_u32_e32 v1, vcc, v122, v1, vcc
	v_lshlrev_b64 v[4:5], 3, v[78:79]
	v_add_co_u32_e32 v4, vcc, s22, v4
	v_addc_co_u32_e32 v5, vcc, v122, v5, vcc
	global_load_dwordx2 v[4:5], v[4:5], off
	s_nop 0
	buffer_load_dword v8, off, s[36:39], 0 offset:108 ; 4-byte Folded Reload
	buffer_load_dword v9, off, s[36:39], 0 offset:112 ; 4-byte Folded Reload
	;; [unrolled: 1-line block ×4, first 2 shown]
	s_waitcnt vmcnt(2)
	v_mul_f64 v[4:5], v[8:9], v[4:5]
	v_add_f64 v[8:9], v[106:107], -v[88:89]
	v_mul_f64 v[8:9], v[8:9], s[0:1]
	v_fma_f64 v[6:7], v[6:7], s[2:3], -v[8:9]
	s_waitcnt vmcnt(0)
	v_mul_f64 v[4:5], v[124:125], v[4:5]
	v_mul_f64 v[4:5], v[6:7], v[4:5]
	global_load_dwordx2 v[0:1], v[0:1], off
	s_nop 0
	buffer_load_dword v102, off, s[36:39], 0 offset:24 ; 4-byte Folded Reload
	buffer_load_dword v103, off, s[36:39], 0 offset:28 ; 4-byte Folded Reload
	;; [unrolled: 1-line block ×6, first 2 shown]
	s_waitcnt vmcnt(0)
	v_pk_mov_b32 v[8:9], v[10:11], v[10:11] op_sel:[0,1]
	v_mul_f64 v[0:1], v[102:103], v[0:1]
	v_mul_f64 v[4:5], v[6:7], v[4:5]
	;; [unrolled: 1-line block ×4, first 2 shown]
	v_fmac_f64_e32 v[60:61], v[2:3], v[0:1]
	buffer_load_dword v0, off, s[36:39], 0 offset:104 ; 4-byte Folded Reload
	v_add_f64 v[4:5], v[76:77], -v[108:109]
	v_add_f64 v[6:7], v[74:75], -v[100:101]
	s_waitcnt vmcnt(0)
	v_add_u32_e32 v92, s4, v0
	v_ashrrev_i32_e32 v93, 31, v92
	v_lshlrev_b64 v[0:1], 3, v[92:93]
	v_add_co_u32_e32 v0, vcc, s22, v0
	v_addc_co_u32_e32 v1, vcc, v122, v1, vcc
	global_load_dwordx2 v[0:1], v[0:1], off
	s_nop 0
	buffer_load_dword v2, off, s[36:39], 0 offset:152 ; 4-byte Folded Reload
	buffer_load_dword v3, off, s[36:39], 0 offset:156 ; 4-byte Folded Reload
	buffer_load_dword v108, off, s[36:39], 0 offset:80 ; 4-byte Folded Reload
	buffer_load_dword v109, off, s[36:39], 0 offset:84 ; 4-byte Folded Reload
	s_waitcnt vmcnt(2)
	v_mul_f64 v[0:1], v[2:3], v[0:1]
	v_add_f64 v[2:3], v[96:97], -v[20:21]
	v_mul_f64 v[2:3], v[2:3], s[0:1]
	v_fma_f64 v[2:3], v[4:5], s[2:3], -v[2:3]
	s_waitcnt vmcnt(0)
	v_mul_f64 v[0:1], v[108:109], v[0:1]
	v_mul_f64 v[0:1], v[2:3], v[0:1]
	buffer_load_dword v2, off, s[36:39], 0 offset:240 ; 4-byte Folded Reload
	buffer_load_dword v3, off, s[36:39], 0 offset:244 ; 4-byte Folded Reload
	v_add_f64 v[4:5], v[62:63], -v[34:35]
	v_mul_f64 v[0:1], v[16:17], v[0:1]
	v_mul_f64 v[4:5], v[4:5], s[0:1]
	v_fma_f64 v[4:5], v[6:7], s[2:3], -v[4:5]
	v_mul_f64 v[6:7], v[8:9], v[0:1]
	v_add_u32_e32 v0, s6, v64
	v_ashrrev_i32_e32 v1, 31, v0
	v_lshlrev_b64 v[0:1], 3, v[0:1]
	v_pk_mov_b32 v[20:21], v[10:11], v[10:11] op_sel:[0,1]
	s_waitcnt vmcnt(1)
	v_add_co_u32_e32 v2, vcc, s22, v2
	s_waitcnt vmcnt(0)
	v_addc_co_u32_e32 v3, vcc, v122, v3, vcc
	global_load_dwordx2 v[2:3], v[2:3], off
	s_nop 0
	buffer_load_dword v100, off, s[36:39], 0 offset:40 ; 4-byte Folded Reload
	buffer_load_dword v101, off, s[36:39], 0 offset:44 ; 4-byte Folded Reload
	v_add_co_u32_e32 v24, vcc, s16, v0
	v_add_u32_e32 v0, s6, v68
	v_addc_co_u32_e32 v25, vcc, v32, v1, vcc
	v_ashrrev_i32_e32 v1, 31, v0
	v_lshlrev_b64 v[0:1], 3, v[0:1]
	v_add_co_u32_e32 v88, vcc, s16, v0
	v_add_u32_e32 v0, s6, v72
	v_addc_co_u32_e32 v89, vcc, v32, v1, vcc
	v_ashrrev_i32_e32 v1, 31, v0
	v_lshlrev_b64 v[0:1], 3, v[0:1]
	;; [unrolled: 5-line block ×11, first 2 shown]
	s_waitcnt vmcnt(0)
	v_mul_f64 v[2:3], v[100:101], v[2:3]
	v_mul_f64 v[2:3], v[108:109], v[2:3]
	v_fmac_f64_e32 v[6:7], v[4:5], v[2:3]
	v_add_co_u32_e32 v2, vcc, s16, v0
	v_add_u32_e32 v0, s6, v82
	v_addc_co_u32_e32 v3, vcc, v32, v1, vcc
	v_ashrrev_i32_e32 v1, 31, v0
	v_lshlrev_b64 v[0:1], 3, v[0:1]
	v_add_co_u32_e32 v76, vcc, s16, v0
	v_add_u32_e32 v0, s6, v86
	v_addc_co_u32_e32 v77, vcc, v32, v1, vcc
	v_ashrrev_i32_e32 v1, 31, v0
	v_lshlrev_b64 v[0:1], 3, v[0:1]
	;; [unrolled: 5-line block ×7, first 2 shown]
	v_add_co_u32_e32 v64, vcc, s22, v0
	v_addc_co_u32_e32 v65, vcc, v122, v1, vcc
	buffer_load_dword v0, off, s[36:39], 0 offset:120 ; 4-byte Folded Reload
	buffer_load_dword v1, off, s[36:39], 0 offset:124 ; 4-byte Folded Reload
	s_waitcnt vmcnt(1)
	v_add_co_u32_e32 v66, vcc, s22, v0
	buffer_load_dword v0, off, s[36:39], 0 offset:116 ; 4-byte Folded Reload
	s_waitcnt vmcnt(1)
	v_addc_co_u32_e32 v67, vcc, v122, v1, vcc
	s_waitcnt vmcnt(0)
	v_add_u32_e32 v0, s4, v0
	v_ashrrev_i32_e32 v1, 31, v0
	v_lshlrev_b64 v[10:11], 3, v[0:1]
	v_add_co_u32_e32 v68, vcc, s22, v10
	v_addc_co_u32_e32 v69, vcc, v122, v11, vcc
	buffer_load_dword v10, off, s[36:39], 0 offset:160 ; 4-byte Folded Reload
	buffer_load_dword v11, off, s[36:39], 0 offset:164 ; 4-byte Folded Reload
	v_add_u32_e32 v0, s6, v0
	v_ashrrev_i32_e32 v1, 31, v0
	v_lshlrev_b64 v[0:1], 3, v[0:1]
	v_add_co_u32_e32 v84, vcc, s22, v0
	v_addc_co_u32_e32 v85, vcc, v122, v1, vcc
	v_mov_b32_e32 v0, s27
	s_waitcnt vmcnt(1)
	v_add_co_u32_e32 v62, vcc, s26, v10
	s_waitcnt vmcnt(0)
	v_addc_co_u32_e32 v63, vcc, v0, v11, vcc
	buffer_load_dword v0, off, s[36:39], 0 offset:292 ; 4-byte Folded Reload
	buffer_load_dword v1, off, s[36:39], 0 offset:296 ; 4-byte Folded Reload
	s_waitcnt vmcnt(0)
	v_fmac_f64_e32 v[52:53], v[20:21], v[0:1]
	buffer_load_dword v0, off, s[36:39], 0 offset:300 ; 4-byte Folded Reload
	buffer_load_dword v1, off, s[36:39], 0 offset:304 ; 4-byte Folded Reload
	buffer_load_dword v10, off, s[36:39], 0 offset:308 ; 4-byte Folded Reload
	buffer_load_dword v11, off, s[36:39], 0 offset:312 ; 4-byte Folded Reload
	s_waitcnt vmcnt(2)
	v_mul_f64 v[0:1], v[0:1], s[0:1]
	s_waitcnt vmcnt(0)
	v_fma_f64 v[0:1], v[10:11], s[2:3], -v[0:1]
	buffer_load_dword v10, off, s[36:39], 0 offset:316 ; 4-byte Folded Reload
	buffer_load_dword v11, off, s[36:39], 0 offset:320 ; 4-byte Folded Reload
	;; [unrolled: 1-line block ×4, first 2 shown]
	v_add_f64 v[0:1], v[52:53], v[0:1]
	s_waitcnt vmcnt(2)
	v_mul_f64 v[10:11], v[10:11], s[0:1]
	s_waitcnt vmcnt(0)
	v_fma_f64 v[10:11], v[12:13], s[2:3], -v[10:11]
	v_add_f64 v[0:1], v[10:11], v[0:1]
	buffer_load_dword v10, off, s[36:39], 0 offset:340 ; 4-byte Folded Reload
	buffer_load_dword v11, off, s[36:39], 0 offset:344 ; 4-byte Folded Reload
	;; [unrolled: 1-line block ×4, first 2 shown]
	s_waitcnt vmcnt(0)
	v_add_f64 v[10:11], v[10:11], -v[12:13]
	buffer_load_dword v12, off, s[36:39], 0 offset:364 ; 4-byte Folded Reload
	buffer_load_dword v13, off, s[36:39], 0 offset:368 ; 4-byte Folded Reload
	;; [unrolled: 1-line block ×4, first 2 shown]
	v_mul_f64 v[10:11], v[10:11], s[0:1]
	s_waitcnt vmcnt(0)
	v_add_f64 v[12:13], v[12:13], -v[14:15]
	v_fma_f64 v[10:11], v[12:13], s[2:3], -v[10:11]
	v_add_f64 v[0:1], v[0:1], v[10:11]
	v_add_f64 v[10:11], v[56:57], -v[44:45]
	v_add_f64 v[12:13], v[42:43], -v[46:47]
	v_mul_f64 v[10:11], v[10:11], s[0:1]
	v_fma_f64 v[10:11], v[12:13], s[2:3], -v[10:11]
	v_add_f64 v[10:11], v[0:1], v[10:11]
	buffer_load_dword v0, off, s[36:39], 0 offset:284 ; 4-byte Folded Reload
	buffer_load_dword v1, off, s[36:39], 0 offset:288 ; 4-byte Folded Reload
	;; [unrolled: 1-line block ×4, first 2 shown]
	v_pk_mov_b32 v[44:45], v[20:21], v[20:21] op_sel:[0,1]
	s_waitcnt vmcnt(0)
	v_mul_f64 v[0:1], v[12:13], v[0:1]
	v_mul_f64 v[12:13], v[0:1], v[70:71]
	global_load_dwordx2 v[46:47], v[24:25], off
	global_load_dwordx2 v[34:35], v[88:89], off
	;; [unrolled: 1-line block ×4, first 2 shown]
	s_waitcnt vmcnt(2)
	v_add_f64 v[14:15], v[46:47], -v[34:35]
	v_mul_f64 v[14:15], v[14:15], s[0:1]
	s_waitcnt vmcnt(0)
	v_add_f64 v[16:17], v[30:31], -v[0:1]
	v_fma_f64 v[14:15], v[16:17], s[2:3], -v[14:15]
	v_mul_f64 v[12:13], v[12:13], v[14:15]
	v_fmac_f64_e32 v[40:41], v[44:45], v[12:13]
	buffer_load_dword v12, off, s[36:39], 0 offset:268 ; 4-byte Folded Reload
	buffer_load_dword v13, off, s[36:39], 0 offset:272 ; 4-byte Folded Reload
	;; [unrolled: 1-line block ×4, first 2 shown]
	global_load_dwordx2 v[52:53], v[90:91], off
	global_load_dwordx2 v[24:25], v[104:105], off
	;; [unrolled: 1-line block ×4, first 2 shown]
	s_waitcnt vmcnt(4)
	v_mul_f64 v[12:13], v[14:15], v[12:13]
	s_waitcnt vmcnt(2)
	v_add_f64 v[14:15], v[52:53], -v[24:25]
	v_mul_f64 v[14:15], v[14:15], s[0:1]
	s_waitcnt vmcnt(0)
	v_add_f64 v[32:33], v[38:39], -v[16:17]
	v_mul_f64 v[12:13], v[12:13], v[48:49]
	v_fma_f64 v[14:15], v[32:33], s[2:3], -v[14:15]
	v_mul_f64 v[12:13], v[12:13], v[14:15]
	v_fmac_f64_e32 v[36:37], v[44:45], v[12:13]
	global_load_dwordx2 v[78:79], v[8:9], off
	global_load_dwordx2 v[56:57], v[18:19], off
	;; [unrolled: 1-line block ×3, first 2 shown]
	s_nop 0
	global_load_dwordx2 v[18:19], v[2:3], off
	global_load_dwordx2 v[88:89], v[76:77], off
	;; [unrolled: 1-line block ×5, first 2 shown]
	s_nop 0
	global_load_dwordx2 v[2:3], v[4:5], off
	global_load_dwordx2 v[8:9], v[80:81], off
	s_nop 0
	global_load_dwordx2 v[4:5], v[64:65], off
	global_load_dwordx2 v[12:13], v[66:67], off
	;; [unrolled: 1-line block ×4, first 2 shown]
	v_add_f64 v[20:21], v[40:41], -v[36:37]
	global_load_dwordx2 v[36:37], v[62:63], off
	buffer_load_dword v40, off, s[36:39], 0 offset:136 ; 4-byte Folded Reload
	buffer_load_dword v41, off, s[36:39], 0 offset:140 ; 4-byte Folded Reload
	;; [unrolled: 1-line block ×4, first 2 shown]
	v_mul_f64 v[20:21], v[20:21], s[0:1]
	v_add_f64 v[0:1], v[0:1], -v[16:17]
	v_mul_f64 v[0:1], v[0:1], s[0:1]
	s_waitcnt vmcnt(15)
	v_add_f64 v[66:67], v[42:43], -v[18:19]
	s_waitcnt vmcnt(10)
	v_mul_f64 v[2:3], v[118:119], v[2:3]
	s_waitcnt vmcnt(8)
	v_mul_f64 v[4:5], v[100:101], v[4:5]
	v_mul_f64 v[4:5], v[108:109], v[4:5]
	s_waitcnt vmcnt(0)
	v_mul_f64 v[40:41], v[64:65], v[40:41]
	buffer_load_dword v64, off, s[36:39], 0 offset:512 ; 4-byte Folded Reload
	buffer_load_dword v65, off, s[36:39], 0 offset:516 ; 4-byte Folded Reload
	s_waitcnt vmcnt(0)
	v_mul_f64 v[40:41], v[40:41], v[64:65]
	v_add_f64 v[64:65], v[78:79], -v[56:57]
	v_mul_f64 v[64:65], v[64:65], s[0:1]
	v_fma_f64 v[64:65], v[66:67], s[2:3], -v[64:65]
	v_mul_f64 v[40:41], v[40:41], v[64:65]
	v_fmac_f64_e32 v[26:27], v[44:45], v[40:41]
	buffer_load_dword v40, off, s[36:39], 0 offset:128 ; 4-byte Folded Reload
	buffer_load_dword v41, off, s[36:39], 0 offset:132 ; 4-byte Folded Reload
	;; [unrolled: 1-line block ×4, first 2 shown]
	v_add_f64 v[66:67], v[48:49], -v[32:33]
	s_waitcnt vmcnt(0)
	v_mul_f64 v[40:41], v[64:65], v[40:41]
	buffer_load_dword v64, off, s[36:39], 0 offset:520 ; 4-byte Folded Reload
	buffer_load_dword v65, off, s[36:39], 0 offset:524 ; 4-byte Folded Reload
	s_waitcnt vmcnt(0)
	v_mul_f64 v[40:41], v[40:41], v[64:65]
	v_add_f64 v[64:65], v[88:89], -v[72:73]
	v_mul_f64 v[64:65], v[64:65], s[0:1]
	v_fma_f64 v[64:65], v[66:67], s[2:3], -v[64:65]
	v_mul_f64 v[40:41], v[40:41], v[64:65]
	v_fmac_f64_e32 v[116:117], v[44:45], v[40:41]
	v_add_f64 v[26:27], v[26:27], -v[116:117]
	v_fma_f64 v[20:21], v[26:27], s[2:3], -v[20:21]
	v_add_f64 v[10:11], v[10:11], v[20:21]
	buffer_load_dword v20, off, s[36:39], 0 offset:72 ; 4-byte Folded Reload
	buffer_load_dword v21, off, s[36:39], 0 offset:76 ; 4-byte Folded Reload
	v_add_f64 v[26:27], v[78:79], -v[88:89]
	s_waitcnt vmcnt(0)
	v_mul_f64 v[2:3], v[20:21], v[2:3]
	v_add_f64 v[20:21], v[46:47], -v[52:53]
	v_mul_f64 v[20:21], v[20:21], s[0:1]
	v_fma_f64 v[20:21], v[26:27], s[2:3], -v[20:21]
	v_mul_f64 v[2:3], v[20:21], v[2:3]
	v_fmac_f64_e32 v[50:51], v[44:45], v[2:3]
	v_mul_f64 v[2:3], v[102:103], v[8:9]
	v_add_f64 v[8:9], v[34:35], -v[24:25]
	buffer_load_dword v24, off, s[36:39], 0 ; 4-byte Folded Reload
	buffer_load_dword v25, off, s[36:39], 0 offset:4 ; 4-byte Folded Reload
	v_add_f64 v[20:21], v[56:57], -v[72:73]
	v_mul_f64 v[8:9], v[8:9], s[0:1]
	v_mul_f64 v[2:3], v[124:125], v[2:3]
	v_fma_f64 v[8:9], v[20:21], s[2:3], -v[8:9]
	v_mul_f64 v[2:3], v[8:9], v[2:3]
	v_add_f64 v[8:9], v[30:31], -v[38:39]
	v_add_f64 v[20:21], v[42:43], -v[48:49]
	v_mul_f64 v[8:9], v[8:9], s[0:1]
	v_fma_f64 v[8:9], v[20:21], s[2:3], -v[8:9]
	v_mul_f64 v[4:5], v[8:9], v[4:5]
	v_fmac_f64_e32 v[6:7], v[44:45], v[4:5]
	buffer_load_dword v20, off, s[36:39], 0 offset:32 ; 4-byte Folded Reload
	buffer_load_dword v21, off, s[36:39], 0 offset:36 ; 4-byte Folded Reload
	v_fmac_f64_e32 v[60:61], v[44:45], v[2:3]
	v_add_f64 v[2:3], v[50:51], -v[60:61]
	v_mul_f64 v[2:3], v[2:3], s[0:1]
	s_waitcnt vmcnt(2)
	v_mul_f64 v[4:5], v[24:25], v[12:13]
	buffer_load_dword v8, off, s[36:39], 0 offset:168 ; 4-byte Folded Reload
	buffer_load_dword v9, off, s[36:39], 0 offset:172 ; 4-byte Folded Reload
	;; [unrolled: 1-line block ×4, first 2 shown]
	s_waitcnt vmcnt(4)
	v_mul_f64 v[4:5], v[20:21], v[4:5]
	v_pk_mov_b32 v[26:27], v[20:21], v[20:21] op_sel:[0,1]
	s_waitcnt vmcnt(0)
	v_add_f64 v[8:9], v[8:9], -v[12:13]
	v_mul_f64 v[8:9], v[8:9], s[0:1]
	v_add_f64 v[12:13], v[112:113], -v[54:55]
	v_fma_f64 v[8:9], v[12:13], s[2:3], -v[8:9]
	buffer_load_dword v12, off, s[36:39], 0 offset:96 ; 4-byte Folded Reload
	buffer_load_dword v13, off, s[36:39], 0 offset:100 ; 4-byte Folded Reload
	s_waitcnt vmcnt(0)
	v_mul_f64 v[12:13], v[12:13], v[14:15]
	v_mul_f64 v[12:13], v[20:21], v[12:13]
	buffer_load_dword v14, off, s[36:39], 0 offset:188 ; 4-byte Folded Reload
	buffer_load_dword v15, off, s[36:39], 0 offset:192 ; 4-byte Folded Reload
	;; [unrolled: 1-line block ×4, first 2 shown]
	s_waitcnt vmcnt(0)
	v_add_f64 v[14:15], v[14:15], -v[20:21]
	v_mul_f64 v[14:15], v[14:15], s[0:1]
	v_add_f64 v[20:21], v[22:23], -v[58:59]
	v_fma_f64 v[14:15], v[20:21], s[2:3], -v[14:15]
	buffer_load_dword v20, off, s[36:39], 0 offset:8 ; 4-byte Folded Reload
	buffer_load_dword v21, off, s[36:39], 0 offset:12 ; 4-byte Folded Reload
	;; [unrolled: 1-line block ×4, first 2 shown]
	v_mul_f64 v[12:13], v[14:15], v[12:13]
	s_waitcnt vmcnt(0)
	v_mul_f64 v[12:13], v[22:23], v[12:13]
	v_mul_f64 v[12:13], v[44:45], v[12:13]
	v_fmac_f64_e32 v[12:13], v[8:9], v[4:5]
	v_mul_f64 v[4:5], v[24:25], v[28:29]
	v_add_f64 v[8:9], v[18:19], -v[32:33]
	v_mul_f64 v[4:5], v[26:27], v[4:5]
	v_fma_f64 v[0:1], v[8:9], s[2:3], -v[0:1]
	v_mul_f64 v[0:1], v[0:1], v[4:5]
	v_fmac_f64_e32 v[12:13], v[44:45], v[0:1]
	v_add_f64 v[0:1], v[6:7], -v[12:13]
	v_fma_f64 v[0:1], v[0:1], s[2:3], -v[2:3]
	buffer_load_dword v2, off, s[36:39], 0 offset:88 ; 4-byte Folded Reload
	buffer_load_dword v3, off, s[36:39], 0 offset:92 ; 4-byte Folded Reload
	v_add_f64 v[0:1], v[10:11], v[0:1]
	v_mul_f64 v[0:1], v[0:1], s[14:15]
	s_waitcnt vmcnt(0)
	v_mul_f64 v[0:1], v[2:3], v[0:1]
	v_fmac_f64_e32 v[0:1], s[12:13], v[36:37]
	global_store_dwordx2 v[62:63], v[0:1], off
.LBB2_2:
	s_endpgm
	.section	.rodata,"a",@progbits
	.p2align	6, 0x0
	.amdhsa_kernel _Z7kernel3iiiiiiiiiiiiddPKdS0_S0_S0_S0_PdS0_S0_S0_S0_S0_S0_S0_
		.amdhsa_group_segment_fixed_size 0
		.amdhsa_private_segment_fixed_size 672
		.amdhsa_kernarg_size 424
		.amdhsa_user_sgpr_count 6
		.amdhsa_user_sgpr_private_segment_buffer 1
		.amdhsa_user_sgpr_dispatch_ptr 0
		.amdhsa_user_sgpr_queue_ptr 0
		.amdhsa_user_sgpr_kernarg_segment_ptr 1
		.amdhsa_user_sgpr_dispatch_id 0
		.amdhsa_user_sgpr_flat_scratch_init 0
		.amdhsa_user_sgpr_kernarg_preload_length 0
		.amdhsa_user_sgpr_kernarg_preload_offset 0
		.amdhsa_user_sgpr_private_segment_size 0
		.amdhsa_uses_dynamic_stack 0
		.amdhsa_system_sgpr_private_segment_wavefront_offset 1
		.amdhsa_system_sgpr_workgroup_id_x 1
		.amdhsa_system_sgpr_workgroup_id_y 1
		.amdhsa_system_sgpr_workgroup_id_z 1
		.amdhsa_system_sgpr_workgroup_info 0
		.amdhsa_system_vgpr_workitem_id 2
		.amdhsa_next_free_vgpr 128
		.amdhsa_next_free_sgpr 40
		.amdhsa_accum_offset 128
		.amdhsa_reserve_vcc 1
		.amdhsa_reserve_flat_scratch 0
		.amdhsa_float_round_mode_32 0
		.amdhsa_float_round_mode_16_64 0
		.amdhsa_float_denorm_mode_32 3
		.amdhsa_float_denorm_mode_16_64 3
		.amdhsa_dx10_clamp 1
		.amdhsa_ieee_mode 1
		.amdhsa_fp16_overflow 0
		.amdhsa_tg_split 0
		.amdhsa_exception_fp_ieee_invalid_op 0
		.amdhsa_exception_fp_denorm_src 0
		.amdhsa_exception_fp_ieee_div_zero 0
		.amdhsa_exception_fp_ieee_overflow 0
		.amdhsa_exception_fp_ieee_underflow 0
		.amdhsa_exception_fp_ieee_inexact 0
		.amdhsa_exception_int_div_zero 0
	.end_amdhsa_kernel
	.text
.Lfunc_end2:
	.size	_Z7kernel3iiiiiiiiiiiiddPKdS0_S0_S0_S0_PdS0_S0_S0_S0_S0_S0_S0_, .Lfunc_end2-_Z7kernel3iiiiiiiiiiiiddPKdS0_S0_S0_S0_PdS0_S0_S0_S0_S0_S0_S0_
                                        ; -- End function
	.section	.AMDGPU.csdata,"",@progbits
; Kernel info:
; codeLenInByte = 14620
; NumSgprs: 44
; NumVgprs: 128
; NumAgprs: 0
; TotalNumVgprs: 128
; ScratchSize: 672
; MemoryBound: 0
; FloatMode: 240
; IeeeMode: 1
; LDSByteSize: 0 bytes/workgroup (compile time only)
; SGPRBlocks: 5
; VGPRBlocks: 15
; NumSGPRsForWavesPerEU: 44
; NumVGPRsForWavesPerEU: 128
; AccumOffset: 128
; Occupancy: 4
; WaveLimiterHint : 0
; COMPUTE_PGM_RSRC2:SCRATCH_EN: 1
; COMPUTE_PGM_RSRC2:USER_SGPR: 6
; COMPUTE_PGM_RSRC2:TRAP_HANDLER: 0
; COMPUTE_PGM_RSRC2:TGID_X_EN: 1
; COMPUTE_PGM_RSRC2:TGID_Y_EN: 1
; COMPUTE_PGM_RSRC2:TGID_Z_EN: 1
; COMPUTE_PGM_RSRC2:TIDIG_COMP_CNT: 2
; COMPUTE_PGM_RSRC3_GFX90A:ACCUM_OFFSET: 31
; COMPUTE_PGM_RSRC3_GFX90A:TG_SPLIT: 0
	.text
	.protected	_Z7kernel4iiiiiiiiiiiiddPKdS0_S0_S0_S0_PdS0_S0_S0_S0_S0_S0_S0_ ; -- Begin function _Z7kernel4iiiiiiiiiiiiddPKdS0_S0_S0_S0_PdS0_S0_S0_S0_S0_S0_S0_
	.globl	_Z7kernel4iiiiiiiiiiiiddPKdS0_S0_S0_S0_PdS0_S0_S0_S0_S0_S0_S0_
	.p2align	8
	.type	_Z7kernel4iiiiiiiiiiiiddPKdS0_S0_S0_S0_PdS0_S0_S0_S0_S0_S0_S0_,@function
_Z7kernel4iiiiiiiiiiiiddPKdS0_S0_S0_S0_PdS0_S0_S0_S0_S0_S0_S0_: ; @_Z7kernel4iiiiiiiiiiiiddPKdS0_S0_S0_S0_PdS0_S0_S0_S0_S0_S0_S0_
; %bb.0:
	s_mov_b64 s[38:39], s[2:3]
	s_mov_b64 s[36:37], s[0:1]
	s_load_dwordx2 s[0:1], s[4:5], 0xb4
	s_load_dwordx8 s[20:27], s[4:5], 0x0
	s_add_u32 s36, s36, s9
	s_addc_u32 s37, s37, 0
	v_and_b32_e32 v1, 0x3ff, v0
	s_waitcnt lgkmcnt(0)
	s_lshr_b32 s2, s0, 16
	s_and_b32 s0, s0, 0xffff
	s_mul_i32 s0, s6, s0
	s_add_i32 s0, s0, s20
	v_add_u32_e32 v6, s0, v1
	s_mul_i32 s0, s7, s2
	s_and_b32 s1, s1, 0xffff
	s_add_i32 s0, s0, s22
	v_bfe_u32 v1, v0, 10, 10
	v_add_u32_e32 v4, s0, v1
	s_mul_i32 s0, s8, s1
	s_add_i32 s0, s0, s24
	v_bfe_u32 v0, v0, 20, 10
	v_add_u32_e32 v13, s0, v0
	v_cmp_gt_i32_e32 vcc, s21, v6
	v_cmp_gt_i32_e64 s[0:1], s23, v4
	s_and_b64 s[0:1], vcc, s[0:1]
	v_cmp_gt_i32_e32 vcc, s25, v13
	s_and_b64 s[0:1], s[0:1], vcc
	s_and_saveexec_b64 s[2:3], s[0:1]
	s_cbranch_execz .LBB3_2
; %bb.1:
	s_load_dwordx4 s[28:31], s[4:5], 0x98
	s_load_dwordx4 s[0:3], s[4:5], 0x60
	s_load_dwordx8 s[16:23], s[4:5], 0x40
	s_load_dwordx8 s[8:15], s[4:5], 0x20
	s_sub_i32 s5, s27, s26
	s_not_b32 s4, s5
	v_subrev_u32_e32 v0, s26, v6
	v_ashrrev_i32_e32 v1, 31, v0
	s_waitcnt lgkmcnt(0)
	s_mul_i32 s6, s4, s8
	s_sub_i32 s4, s9, s8
	s_add_i32 s5, s5, 1
	s_add_i32 s4, s4, 1
	v_lshlrev_b64 v[0:1], 3, v[0:1]
	s_mul_i32 s4, s4, s5
	v_add_co_u32_e32 v0, vcc, s28, v0
	v_mov_b32_e32 v2, s29
	s_mul_i32 s7, s4, s10
	v_addc_co_u32_e32 v1, vcc, v2, v1, vcc
	v_subrev_u32_e32 v2, s8, v4
	s_add_i32 s7, s7, s26
	v_ashrrev_i32_e32 v3, 31, v2
	s_sub_i32 s7, s6, s7
	v_lshlrev_b64 v[2:3], 3, v[2:3]
	v_add_u32_e32 v7, s7, v6
	v_mul_lo_u32 v10, v4, s5
	v_add_co_u32_e32 v32, vcc, s30, v2
	v_mov_b32_e32 v2, s31
	v_add_u32_e32 v110, v10, v7
	v_mul_lo_u32 v5, v13, s4
	v_addc_co_u32_e32 v33, vcc, v2, v3, vcc
	v_add_u32_e32 v2, v110, v5
	v_ashrrev_i32_e32 v3, 31, v2
	v_lshlrev_b64 v[48:49], 3, v[2:3]
	v_add_u32_e32 v11, -2, v6
	v_add3_u32 v19, v5, v10, s7
	v_add_co_u32_e32 v2, vcc, s0, v48
	v_add_u32_e32 v8, v19, v11
	s_sub_i32 s0, s11, s10
	v_mov_b32_e32 v3, s1
	v_ashrrev_i32_e32 v9, 31, v8
	s_add_i32 s6, s0, 1
	v_addc_co_u32_e32 v3, vcc, v3, v49, vcc
	v_lshlrev_b64 v[8:9], 3, v[8:9]
	s_mul_i32 s6, s6, s4
	v_add_co_u32_e32 v8, vcc, s18, v8
	v_mov_b32_e32 v111, s19
	s_sub_i32 s0, s7, s6
	v_addc_co_u32_e32 v9, vcc, v111, v9, vcc
	v_add_u32_e32 v20, s0, v10
	global_load_dwordx4 v[106:109], v[0:1], off
	global_load_dwordx4 v[42:45], v[0:1], off offset:-16
	global_load_dwordx2 v[60:61], v[8:9], off
	v_add_u32_e32 v8, v20, v11
	v_add_u32_e32 v9, v8, v5
	buffer_store_dword v8, off, s[36:39], 0 offset:240 ; 4-byte Folded Spill
	v_add_u32_e32 v8, s6, v9
	v_mov_b32_e32 v30, v9
	v_ashrrev_i32_e32 v9, 31, v8
	v_lshlrev_b64 v[8:9], 3, v[8:9]
	v_add_co_u32_e32 v8, vcc, s22, v8
	v_mov_b32_e32 v12, s23
	v_addc_co_u32_e32 v9, vcc, v12, v9, vcc
	v_add_u32_e32 v11, -1, v6
	global_load_dwordx2 v[62:63], v[8:9], off
	v_add_u32_e32 v8, v19, v11
	v_ashrrev_i32_e32 v9, 31, v8
	v_lshlrev_b64 v[8:9], 3, v[8:9]
	v_add_co_u32_e32 v8, vcc, s18, v8
	v_addc_co_u32_e32 v9, vcc, v111, v9, vcc
	global_load_dwordx2 v[34:35], v[8:9], off
	v_add_u32_e32 v8, v20, v11
	v_add_u32_e32 v9, v8, v5
	global_load_dwordx4 v[52:55], v[32:33], off
	v_mov_b32_e32 v40, v9
	global_load_dwordx2 v[2:3], v[2:3], off
	v_add_u32_e32 v31, s0, v6
	buffer_store_dword v30, off, s[36:39], 0 offset:224 ; 4-byte Folded Spill
	v_add_u32_e32 v116, v10, v31
	v_add_u32_e32 v18, v116, v5
	s_mul_i32 s7, s6, 3
	s_lshl_b32 s8, s6, 1
	v_add_u32_e32 v4, -2, v4
	v_mul_lo_u32 v4, v4, s5
	s_lshl_b32 s9, s6, 2
	s_waitcnt vmcnt(3)
	buffer_store_dword v34, off, s[36:39], 0 offset:136 ; 4-byte Folded Spill
	s_nop 0
	buffer_store_dword v35, off, s[36:39], 0 offset:140 ; 4-byte Folded Spill
	buffer_store_dword v8, off, s[36:39], 0 offset:244 ; 4-byte Folded Spill
	v_add_u32_e32 v8, s6, v9
	v_ashrrev_i32_e32 v9, 31, v8
	v_lshlrev_b64 v[8:9], 3, v[8:9]
	v_add_co_u32_e32 v8, vcc, s22, v8
	v_addc_co_u32_e32 v9, vcc, v12, v9, vcc
	global_load_dwordx2 v[36:37], v[8:9], off
	v_add_co_u32_e32 v8, vcc, s18, v48
	v_addc_co_u32_e32 v9, vcc, v111, v49, vcc
	global_load_dwordx2 v[92:93], v[8:9], off
	v_add_u32_e32 v8, s6, v18
	v_ashrrev_i32_e32 v9, 31, v8
	v_lshlrev_b64 v[64:65], 3, v[8:9]
	v_add_u32_e32 v9, 1, v6
	v_add_u32_e32 v14, v19, v9
	v_add_co_u32_e32 v10, vcc, s22, v64
	v_ashrrev_i32_e32 v15, 31, v14
	v_addc_co_u32_e32 v11, vcc, v12, v65, vcc
	v_lshlrev_b64 v[14:15], 3, v[14:15]
	v_add_co_u32_e32 v14, vcc, s18, v14
	v_addc_co_u32_e32 v15, vcc, v111, v15, vcc
	global_load_dwordx2 v[38:39], v[14:15], off
	v_add_u32_e32 v9, v20, v9
	buffer_store_dword v40, off, s[36:39], 0 offset:168 ; 4-byte Folded Spill
	global_load_dwordx2 v[10:11], v[10:11], off
	v_add_u32_e32 v6, 2, v6
	s_waitcnt vmcnt(2)
	buffer_store_dword v38, off, s[36:39], 0 offset:184 ; 4-byte Folded Spill
	s_nop 0
	buffer_store_dword v39, off, s[36:39], 0 offset:188 ; 4-byte Folded Spill
	buffer_store_dword v9, off, s[36:39], 0 offset:248 ; 4-byte Folded Spill
	v_add_u32_e32 v9, v9, v5
	v_add_u32_e32 v14, s6, v9
	v_ashrrev_i32_e32 v15, 31, v14
	v_lshlrev_b64 v[16:17], 3, v[14:15]
	v_add_co_u32_e32 v16, vcc, s22, v16
	v_addc_co_u32_e32 v17, vcc, v12, v17, vcc
	global_load_dwordx2 v[56:57], v[16:17], off
	v_add_u32_e32 v16, v19, v6
	v_ashrrev_i32_e32 v17, 31, v16
	v_lshlrev_b64 v[16:17], 3, v[16:17]
	v_add_co_u32_e32 v16, vcc, s18, v16
	v_add_u32_e32 v6, v20, v6
	v_addc_co_u32_e32 v17, vcc, v111, v17, vcc
	buffer_store_dword v6, off, s[36:39], 0 offset:252 ; 4-byte Folded Spill
	v_add_u32_e32 v6, v6, v5
	global_load_dwordx2 v[72:73], v[16:17], off
	v_add_u32_e32 v16, s6, v6
	v_ashrrev_i32_e32 v17, 31, v16
	v_lshlrev_b64 v[20:21], 3, v[16:17]
	v_add_co_u32_e32 v20, vcc, s22, v20
	buffer_store_dword v9, off, s[36:39], 0 offset:180 ; 4-byte Folded Spill
	buffer_store_dword v6, off, s[36:39], 0 offset:228 ; 4-byte Folded Spill
	v_addc_co_u32_e32 v21, vcc, v12, v21, vcc
	global_load_dwordx2 v[74:75], v[20:21], off
	global_load_dwordx2 v[70:71], v[0:1], off offset:16
	v_mul_f64 v[0:1], v[106:107], v[52:53]
	v_div_scale_f64 v[20:21], s[0:1], v[2:3], v[2:3], v[0:1]
	v_rcp_f64_e32 v[22:23], v[20:21]
	v_add_u32_e32 v19, v5, v7
	v_add_u32_e32 v6, v19, v4
	v_ashrrev_i32_e32 v7, 31, v6
	v_fma_f64 v[24:25], -v[20:21], v[22:23], 1.0
	v_fmac_f64_e32 v[22:23], v[22:23], v[24:25]
	v_fma_f64 v[24:25], -v[20:21], v[22:23], 1.0
	v_fmac_f64_e32 v[22:23], v[22:23], v[24:25]
	v_div_scale_f64 v[24:25], vcc, v[0:1], v[2:3], v[0:1]
	v_mul_f64 v[26:27], v[24:25], v[22:23]
	v_fma_f64 v[20:21], -v[20:21], v[26:27], v[24:25]
	v_div_scale_f64 v[24:25], s[0:1], v[52:53], v[52:53], 1.0
	v_rcp_f64_e32 v[28:29], v[24:25]
	v_div_fmas_f64 v[20:21], v[20:21], v[22:23], v[26:27]
	v_div_fixup_f64 v[0:1], v[20:21], v[2:3], v[0:1]
	buffer_store_dword v0, off, s[36:39], 0 ; 4-byte Folded Spill
	s_nop 0
	buffer_store_dword v1, off, s[36:39], 0 offset:4 ; 4-byte Folded Spill
	v_fma_f64 v[0:1], -v[24:25], v[28:29], 1.0
	v_fmac_f64_e32 v[28:29], v[28:29], v[0:1]
	v_div_scale_f64 v[20:21], s[0:1], v[106:107], v[106:107], 1.0
	v_fma_f64 v[0:1], -v[24:25], v[28:29], 1.0
	v_rcp_f64_e32 v[22:23], v[20:21]
	v_fmac_f64_e32 v[28:29], v[28:29], v[0:1]
	v_div_scale_f64 v[0:1], vcc, 1.0, v[52:53], 1.0
	v_mul_f64 v[2:3], v[0:1], v[28:29]
	v_fma_f64 v[0:1], -v[24:25], v[2:3], v[0:1]
	v_lshlrev_b64 v[6:7], 3, v[6:7]
	s_nop 0
	v_div_fmas_f64 v[82:83], v[0:1], v[28:29], v[2:3]
	v_fma_f64 v[0:1], -v[20:21], v[22:23], 1.0
	v_fmac_f64_e32 v[22:23], v[22:23], v[0:1]
	v_fma_f64 v[0:1], -v[20:21], v[22:23], 1.0
	v_fmac_f64_e32 v[22:23], v[22:23], v[0:1]
	v_div_scale_f64 v[0:1], vcc, 1.0, v[106:107], 1.0
	v_mul_f64 v[2:3], v[0:1], v[22:23]
	v_fma_f64 v[0:1], -v[20:21], v[2:3], v[0:1]
	s_waitcnt vmcnt(12)
	v_mul_f64 v[20:21], v[92:93], v[10:11]
	v_div_fmas_f64 v[0:1], v[0:1], v[22:23], v[2:3]
	buffer_store_dword v0, off, s[36:39], 0 offset:232 ; 4-byte Folded Spill
	s_nop 0
	buffer_store_dword v1, off, s[36:39], 0 offset:236 ; 4-byte Folded Spill
	buffer_store_dword v36, off, s[36:39], 0 offset:128 ; 4-byte Folded Spill
	s_nop 0
	buffer_store_dword v37, off, s[36:39], 0 offset:132 ; 4-byte Folded Spill
	;; [unrolled: 3-line block ×3, first 2 shown]
	buffer_store_dword v44, off, s[36:39], 0 offset:216 ; 4-byte Folded Spill
	buffer_store_dword v45, off, s[36:39], 0 offset:220 ; 4-byte Folded Spill
	s_waitcnt vmcnt(16)
	buffer_store_dword v56, off, s[36:39], 0 offset:192 ; 4-byte Folded Spill
	s_nop 0
	buffer_store_dword v57, off, s[36:39], 0 offset:196 ; 4-byte Folded Spill
	v_mul_f64 v[46:47], v[10:11], v[20:21]
	v_mul_f64 v[0:1], v[60:61], v[62:63]
	;; [unrolled: 1-line block ×4, first 2 shown]
	s_mov_b32 s1, 0x3fc55555
	s_mov_b32 s0, 0x55555555
	s_waitcnt vmcnt(13)
	v_mul_f64 v[20:21], v[72:73], v[74:75]
	v_mul_f64 v[20:21], v[74:75], v[20:21]
	v_fma_f64 v[22:23], v[42:43], v[0:1], v[58:59]
	v_mul_f64 v[2:3], v[34:35], v[36:37]
	v_mul_f64 v[2:3], v[36:37], v[2:3]
	;; [unrolled: 1-line block ×3, first 2 shown]
	v_pk_mov_b32 v[66:67], v[50:51], v[50:51] op_sel:[0,1]
	s_waitcnt vmcnt(12)
	v_fmac_f64_e32 v[50:51], v[70:71], v[20:21]
	v_fmac_f64_e32 v[66:67], 0xbfe80000, v[22:23]
	v_mul_f64 v[10:11], v[38:39], v[56:57]
	v_mul_f64 v[10:11], v[56:57], v[10:11]
	v_mul_f64 v[56:57], v[108:109], v[10:11]
	v_fma_f64 v[68:69], v[42:43], v[0:1], v[56:57]
	v_fma_f64 v[0:1], v[44:45], v[2:3], v[58:59]
	v_fmac_f64_e32 v[68:69], 0x40080000, v[0:1]
	v_fma_f64 v[0:1], v[108:109], v[10:11], v[58:59]
	v_fmac_f64_e32 v[50:51], 0x40080000, v[0:1]
	v_add_u32_e32 v0, s7, v30
	v_ashrrev_i32_e32 v1, 31, v0
	v_lshlrev_b64 v[0:1], 3, v[0:1]
	v_add_u32_e32 v2, s8, v8
	v_add_co_u32_e32 v0, vcc, s16, v0
	v_mov_b32_e32 v30, s17
	v_ashrrev_i32_e32 v3, 31, v2
	v_addc_co_u32_e32 v1, vcc, v30, v1, vcc
	v_lshlrev_b64 v[8:9], 3, v[2:3]
	v_add_co_u32_e32 v2, vcc, s16, v8
	v_addc_co_u32_e32 v3, vcc, v30, v9, vcc
	global_load_dwordx2 v[0:1], v[0:1], off
	v_pk_mov_b32 v[38:39], v[8:9], v[8:9] op_sel:[0,1]
	global_load_dwordx2 v[88:89], v[2:3], off
	v_add_u32_e32 v2, s7, v40
	v_ashrrev_i32_e32 v3, 31, v2
	v_lshlrev_b64 v[2:3], 3, v[2:3]
	v_add_u32_e32 v8, s8, v14
	v_add_co_u32_e32 v2, vcc, s16, v2
	v_ashrrev_i32_e32 v9, 31, v8
	v_addc_co_u32_e32 v3, vcc, v30, v3, vcc
	v_lshlrev_b64 v[8:9], 3, v[8:9]
	v_add_co_u32_e32 v8, vcc, s16, v8
	v_addc_co_u32_e32 v9, vcc, v30, v9, vcc
	global_load_dwordx2 v[76:77], v[8:9], off
	v_add_u32_e32 v8, s8, v16
	v_ashrrev_i32_e32 v9, 31, v8
	v_lshlrev_b64 v[8:9], 3, v[8:9]
	v_add_co_u32_e32 v8, vcc, s16, v8
	v_addc_co_u32_e32 v9, vcc, v30, v9, vcc
	v_add_co_u32_e32 v6, vcc, s18, v6
	v_addc_co_u32_e32 v7, vcc, v111, v7, vcc
	global_load_dwordx2 v[28:29], v[6:7], off
	v_add_u32_e32 v6, v4, v31
	v_add_u32_e32 v7, v6, v5
	global_load_dwordx2 v[2:3], v[2:3], off
	v_mov_b32_e32 v90, v7
	global_load_dwordx2 v[8:9], v[8:9], off
	s_waitcnt vmcnt(2)
	buffer_store_dword v28, off, s[36:39], 0 offset:56 ; 4-byte Folded Spill
	s_nop 0
	buffer_store_dword v29, off, s[36:39], 0 offset:60 ; 4-byte Folded Spill
	buffer_store_dword v6, off, s[36:39], 0 offset:112 ; 4-byte Folded Spill
	v_add_u32_e32 v6, s6, v7
	v_ashrrev_i32_e32 v7, 31, v6
	v_lshlrev_b64 v[6:7], 3, v[6:7]
	v_add_co_u32_e32 v6, vcc, s22, v6
	v_addc_co_u32_e32 v7, vcc, v12, v7, vcc
	v_add_u32_e32 v4, s5, v4
	global_load_dwordx2 v[26:27], v[6:7], off
	v_add_u32_e32 v6, v19, v4
	v_ashrrev_i32_e32 v7, 31, v6
	v_lshlrev_b64 v[6:7], 3, v[6:7]
	v_add_co_u32_e32 v6, vcc, s18, v6
	v_addc_co_u32_e32 v7, vcc, v111, v7, vcc
	global_load_dwordx2 v[24:25], v[6:7], off
	v_add_u32_e32 v6, v4, v31
	buffer_store_dword v90, off, s[36:39], 0 offset:156 ; 4-byte Folded Spill
	s_waitcnt vmcnt(1)
	buffer_store_dword v24, off, s[36:39], 0 offset:12 ; 4-byte Folded Spill
	s_nop 0
	buffer_store_dword v25, off, s[36:39], 0 offset:16 ; 4-byte Folded Spill
	buffer_store_dword v6, off, s[36:39], 0 offset:108 ; 4-byte Folded Spill
	v_add_u32_e32 v6, v6, v5
	buffer_store_dword v6, off, s[36:39], 0 offset:8 ; 4-byte Folded Spill
	v_add_u32_e32 v6, s6, v6
	v_ashrrev_i32_e32 v7, 31, v6
	v_lshlrev_b64 v[10:11], 3, v[6:7]
	v_add_co_u32_e32 v10, vcc, s22, v10
	v_addc_co_u32_e32 v11, vcc, v12, v11, vcc
	v_lshl_add_u32 v4, s5, 1, v4
	global_load_dwordx2 v[22:23], v[10:11], off
	v_add_u32_e32 v10, v19, v4
	v_add_u32_e32 v7, v4, v31
	;; [unrolled: 1-line block ×3, first 2 shown]
	v_fmac_f64_e32 v[58:59], v[70:71], v[20:21]
	v_ashrrev_i32_e32 v11, 31, v10
	v_add_u32_e32 v20, v19, v4
	v_add_u32_e32 v4, v4, v31
	v_lshlrev_b64 v[10:11], 3, v[10:11]
	buffer_store_dword v7, off, s[36:39], 0 offset:124 ; 4-byte Folded Spill
	v_add_u32_e32 v7, v7, v5
	buffer_store_dword v4, off, s[36:39], 0 offset:144 ; 4-byte Folded Spill
	v_add_u32_e32 v4, v4, v5
	v_add_co_u32_e32 v10, vcc, s18, v10
	buffer_store_dword v7, off, s[36:39], 0 offset:44 ; 4-byte Folded Spill
	buffer_store_dword v4, off, s[36:39], 0 offset:104 ; 4-byte Folded Spill
	v_addc_co_u32_e32 v11, vcc, v111, v11, vcc
	global_load_dwordx4 v[78:81], v[32:33], off offset:-16
	global_load_dwordx2 v[84:85], v[10:11], off
	v_add_u32_e32 v16, s6, v7
	v_ashrrev_i32_e32 v17, 31, v16
	v_lshlrev_b64 v[14:15], 3, v[16:17]
	v_add_co_u32_e32 v14, vcc, s22, v14
	v_ashrrev_i32_e32 v21, 31, v20
	v_addc_co_u32_e32 v15, vcc, v12, v15, vcc
	v_lshlrev_b64 v[20:21], 3, v[20:21]
	v_add_co_u32_e32 v34, vcc, s18, v20
	s_waitcnt vmcnt(0)
	buffer_store_dword v84, off, s[36:39], 0 offset:28 ; 4-byte Folded Spill
	s_nop 0
	buffer_store_dword v85, off, s[36:39], 0 offset:32 ; 4-byte Folded Spill
	v_addc_co_u32_e32 v35, vcc, v111, v21, vcc
	global_load_dwordx2 v[40:41], v[14:15], off
	global_load_dwordx2 v[86:87], v[34:35], off
	v_add_u32_e32 v4, s6, v4
	v_ashrrev_i32_e32 v5, 31, v4
	v_lshlrev_b64 v[20:21], 3, v[4:5]
	v_add_co_u32_e32 v36, vcc, s22, v20
	v_addc_co_u32_e32 v37, vcc, v12, v21, vcc
	s_waitcnt vmcnt(0)
	buffer_store_dword v86, off, s[36:39], 0 offset:96 ; 4-byte Folded Spill
	s_nop 0
	buffer_store_dword v87, off, s[36:39], 0 offset:100 ; 4-byte Folded Spill
	global_load_dwordx2 v[34:35], v[36:37], off
	s_nop 0
	global_load_dwordx2 v[32:33], v[32:33], off offset:16
	s_nop 0
	buffer_store_dword v26, off, s[36:39], 0 offset:48 ; 4-byte Folded Spill
	s_nop 0
	buffer_store_dword v27, off, s[36:39], 0 offset:52 ; 4-byte Folded Spill
	buffer_store_dword v22, off, s[36:39], 0 offset:20 ; 4-byte Folded Spill
	s_nop 0
	buffer_store_dword v23, off, s[36:39], 0 offset:24 ; 4-byte Folded Spill
	v_add_f64 v[2:3], v[2:3], -v[88:89]
	v_add_f64 v[0:1], v[0:1], -v[88:89]
	v_mul_f64 v[96:97], v[68:69], v[2:3]
	v_fmac_f64_e32 v[96:97], v[66:67], v[0:1]
	v_add_f64 v[0:1], v[76:77], -v[88:89]
	v_fmac_f64_e32 v[56:57], 0xbfe80000, v[58:59]
	v_fmac_f64_e32 v[96:97], v[50:51], v[0:1]
	v_add_f64 v[0:1], v[8:9], -v[88:89]
	buffer_store_dword v40, off, s[36:39], 0 offset:36 ; 4-byte Folded Spill
	s_nop 0
	buffer_store_dword v41, off, s[36:39], 0 offset:40 ; 4-byte Folded Spill
	v_fmac_f64_e32 v[96:97], v[56:57], v[0:1]
	s_waitcnt vmcnt(7)
	buffer_store_dword v34, off, s[36:39], 0 offset:88 ; 4-byte Folded Spill
	s_nop 0
	buffer_store_dword v35, off, s[36:39], 0 offset:92 ; 4-byte Folded Spill
	v_mul_f64 v[0:1], v[28:29], v[26:27]
	v_mul_f64 v[10:11], v[26:27], v[0:1]
	;; [unrolled: 1-line block ×5, first 2 shown]
	buffer_store_dword v78, off, s[36:39], 0 offset:64 ; 4-byte Folded Spill
	s_nop 0
	buffer_store_dword v79, off, s[36:39], 0 offset:68 ; 4-byte Folded Spill
	buffer_store_dword v80, off, s[36:39], 0 offset:72 ; 4-byte Folded Spill
	;; [unrolled: 1-line block ×3, first 2 shown]
	s_waitcnt vmcnt(12)
	buffer_store_dword v32, off, s[36:39], 0 offset:80 ; 4-byte Folded Spill
	s_nop 0
	buffer_store_dword v33, off, s[36:39], 0 offset:84 ; 4-byte Folded Spill
	v_mul_f64 v[20:21], v[52:53], v[46:47]
	v_add_u32_e32 v6, s8, v6
	v_ashrrev_i32_e32 v7, 31, v6
	v_mul_f64 v[0:1], v[84:85], v[40:41]
	v_mul_f64 v[22:23], v[40:41], v[0:1]
	;; [unrolled: 1-line block ×3, first 2 shown]
	v_lshlrev_b64 v[6:7], 3, v[6:7]
	v_add_u32_e32 v16, s8, v16
	v_ashrrev_i32_e32 v17, 31, v16
	v_lshlrev_b64 v[16:17], 3, v[16:17]
	v_add_u32_e32 v4, s8, v4
	v_ashrrev_i32_e32 v5, 31, v4
	;; [unrolled: 3-line block ×3, first 2 shown]
	s_mov_b32 s5, 0x3fe55555
	v_mul_f64 v[8:9], v[86:87], v[34:35]
	v_mul_f64 v[24:25], v[34:35], v[8:9]
	v_pk_mov_b32 v[8:9], v[2:3], v[2:3] op_sel:[0,1]
	v_mov_b32_e32 v34, s21
	v_fma_f64 v[26:27], v[78:79], v[10:11], v[20:21]
	v_fma_f64 v[10:11], v[78:79], v[10:11], v[0:1]
	;; [unrolled: 1-line block ×3, first 2 shown]
	v_fmac_f64_e32 v[10:11], 0x40080000, v[14:15]
	v_fmac_f64_e32 v[2:3], v[32:33], v[24:25]
	v_fma_f64 v[14:15], v[54:55], v[22:23], v[20:21]
	v_fmac_f64_e32 v[2:3], 0x40080000, v[14:15]
	v_add_u32_e32 v14, s7, v90
	v_ashrrev_i32_e32 v15, 31, v14
	v_lshlrev_b64 v[14:15], 3, v[14:15]
	buffer_store_dword v14, off, s[36:39], 0 offset:160 ; 4-byte Folded Spill
	s_nop 0
	buffer_store_dword v15, off, s[36:39], 0 offset:164 ; 4-byte Folded Spill
	v_fmac_f64_e32 v[8:9], 0xbfe80000, v[26:27]
	v_fmac_f64_e32 v[20:21], v[32:33], v[24:25]
	;; [unrolled: 1-line block ×3, first 2 shown]
	v_add_co_u32_e32 v14, vcc, s16, v14
	v_addc_co_u32_e32 v15, vcc, v30, v15, vcc
	global_load_dwordx2 v[14:15], v[14:15], off
	s_nop 0
	buffer_store_dword v6, off, s[36:39], 0 offset:116 ; 4-byte Folded Spill
	s_nop 0
	buffer_store_dword v7, off, s[36:39], 0 offset:120 ; 4-byte Folded Spill
	v_add_co_u32_e32 v6, vcc, s16, v6
	v_addc_co_u32_e32 v7, vcc, v30, v7, vcc
	global_load_dwordx2 v[6:7], v[6:7], off
	s_nop 0
	buffer_store_dword v16, off, s[36:39], 0 offset:148 ; 4-byte Folded Spill
	s_nop 0
	buffer_store_dword v17, off, s[36:39], 0 offset:152 ; 4-byte Folded Spill
	s_waitcnt vmcnt(5)
	v_add_f64 v[14:15], v[14:15], -v[88:89]
	v_add_co_u32_e32 v16, vcc, s16, v16
	v_addc_co_u32_e32 v17, vcc, v30, v17, vcc
	global_load_dwordx2 v[16:17], v[16:17], off
	s_nop 0
	buffer_store_dword v4, off, s[36:39], 0 offset:172 ; 4-byte Folded Spill
	s_nop 0
	buffer_store_dword v5, off, s[36:39], 0 offset:176 ; 4-byte Folded Spill
	s_waitcnt vmcnt(5)
	v_add_f64 v[6:7], v[6:7], -v[88:89]
	v_mul_f64 v[102:103], v[10:11], v[6:7]
	v_fmac_f64_e32 v[102:103], v[8:9], v[14:15]
	v_add_co_u32_e32 v4, vcc, s16, v4
	v_addc_co_u32_e32 v5, vcc, v30, v5, vcc
	global_load_dwordx2 v[4:5], v[4:5], off
	s_waitcnt vmcnt(3)
	v_add_f64 v[6:7], v[16:17], -v[88:89]
	v_fmac_f64_e32 v[102:103], v[2:3], v[6:7]
	s_waitcnt vmcnt(0)
	v_add_f64 v[2:3], v[4:5], -v[88:89]
	v_fmac_f64_e32 v[102:103], v[0:1], v[2:3]
	v_add_u32_e32 v0, -2, v13
	v_mul_lo_u32 v56, v0, s4
	v_add_u32_e32 v0, v56, v110
	v_ashrrev_i32_e32 v1, 31, v0
	v_lshlrev_b64 v[2:3], 3, v[0:1]
	v_add_u32_e32 v13, v56, v116
	v_add_co_u32_e32 v0, vcc, s18, v2
	v_add_u32_e32 v6, s8, v13
	v_addc_co_u32_e32 v1, vcc, v111, v3, vcc
	v_add_u32_e32 v4, s8, v6
	v_add_co_u32_e32 v2, vcc, s20, v2
	v_ashrrev_i32_e32 v5, 31, v4
	v_addc_co_u32_e32 v3, vcc, v34, v3, vcc
	v_lshlrev_b64 v[4:5], 3, v[4:5]
	v_add_u32_e32 v57, s4, v56
	v_add_co_u32_e32 v10, vcc, s22, v4
	v_add_u32_e32 v4, v57, v110
	v_addc_co_u32_e32 v11, vcc, v12, v5, vcc
	v_ashrrev_i32_e32 v5, 31, v4
	v_lshlrev_b64 v[4:5], 3, v[4:5]
	v_add_co_u32_e32 v8, vcc, s18, v4
	v_add_u32_e32 v35, v57, v116
	v_addc_co_u32_e32 v9, vcc, v111, v5, vcc
	v_add_u32_e32 v26, s8, v35
	v_add_co_u32_e32 v22, vcc, s20, v4
	v_add_u32_e32 v4, s8, v26
	v_addc_co_u32_e32 v23, vcc, v34, v5, vcc
	v_ashrrev_i32_e32 v5, 31, v4
	v_lshlrev_b64 v[4:5], 3, v[4:5]
	v_add_co_u32_e32 v28, vcc, s22, v4
	v_addc_co_u32_e32 v29, vcc, v12, v5, vcc
	v_add_u32_e32 v4, s8, v36
	v_add_co_u32_e32 v32, vcc, s20, v48
	v_ashrrev_i32_e32 v5, 31, v4
	v_addc_co_u32_e32 v33, vcc, v34, v49, vcc
	v_lshlrev_b64 v[4:5], 3, v[4:5]
	v_lshl_add_u32 v31, s4, 1, v57
	v_add_co_u32_e32 v50, vcc, s22, v4
	v_add_u32_e32 v4, v31, v110
	v_addc_co_u32_e32 v51, vcc, v12, v5, vcc
	v_ashrrev_i32_e32 v5, 31, v4
	v_lshlrev_b64 v[16:17], 3, v[4:5]
	v_add_u32_e32 v46, v31, v116
	v_add_co_u32_e32 v4, vcc, s18, v16
	v_add_u32_e32 v18, s8, v46
	v_addc_co_u32_e32 v5, vcc, v111, v17, vcc
	v_add_u32_e32 v20, s8, v18
	v_add_co_u32_e32 v16, vcc, s20, v16
	v_ashrrev_i32_e32 v21, 31, v20
	v_addc_co_u32_e32 v17, vcc, v34, v17, vcc
	v_lshlrev_b64 v[20:21], 3, v[20:21]
	v_add_co_u32_e32 v20, vcc, s22, v20
	v_ashrrev_i32_e32 v7, 31, v6
	v_addc_co_u32_e32 v21, vcc, v12, v21, vcc
	v_lshlrev_b64 v[24:25], 3, v[6:7]
	global_load_dwordx2 v[48:49], v[0:1], off
	global_load_dwordx2 v[112:113], v[2:3], off
	v_add_co_u32_e32 v0, vcc, s22, v24
	v_addc_co_u32_e32 v1, vcc, v12, v25, vcc
	global_load_dwordx2 v[100:101], v[0:1], off
	global_load_dwordx2 v[42:43], v[8:9], off
	;; [unrolled: 1-line block ×3, first 2 shown]
	v_lshlrev_b64 v[8:9], 3, v[36:37]
	v_ashrrev_i32_e32 v27, 31, v26
	v_add_co_u32_e32 v0, vcc, s22, v8
	v_lshlrev_b64 v[40:41], 3, v[26:27]
	v_addc_co_u32_e32 v1, vcc, v12, v9, vcc
	global_load_dwordx2 v[14:15], v[32:33], off
	global_load_dwordx2 v[124:125], v[0:1], off
	;; [unrolled: 1-line block ×3, first 2 shown]
	v_add_co_u32_e32 v0, vcc, s22, v40
	v_ashrrev_i32_e32 v19, 31, v18
	v_addc_co_u32_e32 v1, vcc, v12, v41, vcc
	v_lshlrev_b64 v[18:19], 3, v[18:19]
	global_load_dwordx2 v[98:99], v[0:1], off
	global_load_dwordx2 v[86:87], v[28:29], off
	;; [unrolled: 1-line block ×5, first 2 shown]
	v_add_co_u32_e32 v4, vcc, s22, v18
	v_addc_co_u32_e32 v5, vcc, v12, v19, vcc
	global_load_dwordx2 v[104:105], v[4:5], off
	global_load_dwordx2 v[94:95], v[20:21], off
	v_add_u32_e32 v68, s6, v13
	v_ashrrev_i32_e32 v69, 31, v68
	v_lshlrev_b64 v[120:121], 3, v[68:69]
	v_add_u32_e32 v13, s4, v31
	v_add_u32_e32 v6, v13, v116
	s_mov_b32 s4, s0
	s_waitcnt vmcnt(13)
	v_add_f64 v[78:79], v[48:49], v[112:113]
	s_waitcnt vmcnt(10)
	v_add_f64 v[76:77], v[42:43], v[84:85]
	;; [unrolled: 2-line block ×3, first 2 shown]
	s_waitcnt vmcnt(8)
	v_mul_f64 v[2:3], v[0:1], v[124:125]
	s_waitcnt vmcnt(7)
	v_mul_f64 v[10:11], v[2:3], v[122:123]
	v_mul_f64 v[2:3], v[78:79], v[100:101]
	v_fmac_f64_e32 v[14:15], 2.0, v[92:93]
	s_waitcnt vmcnt(6)
	v_mul_f64 v[28:29], v[76:77], v[98:99]
	s_waitcnt vmcnt(5)
	v_mul_f64 v[22:23], v[28:29], v[86:87]
	s_waitcnt vmcnt(4)
	v_fma_f64 v[32:33], v[2:3], v[114:115], v[10:11]
	s_waitcnt vmcnt(2)
	v_add_f64 v[36:37], v[58:59], v[90:91]
	v_pk_mov_b32 v[118:119], v[22:23], v[22:23] op_sel:[0,1]
	v_fmac_f64_e32 v[118:119], 0xbfe80000, v[32:33]
	v_fma_f64 v[4:5], v[28:29], v[86:87], v[10:11]
	s_waitcnt vmcnt(1)
	v_mul_f64 v[20:21], v[36:37], v[104:105]
	s_waitcnt vmcnt(0)
	v_mul_f64 v[32:33], v[20:21], v[94:95]
	v_fma_f64 v[2:3], v[2:3], v[114:115], v[32:33]
	v_add_u32_e32 v28, s6, v35
	v_fmac_f64_e32 v[2:3], 0x40080000, v[4:5]
	v_add_co_u32_e32 v4, vcc, s16, v64
	v_ashrrev_i32_e32 v29, 31, v28
	v_addc_co_u32_e32 v5, vcc, v30, v65, vcc
	v_lshlrev_b64 v[126:127], 3, v[28:29]
	global_load_dwordx2 v[66:67], v[4:5], off
	v_add_co_u32_e32 v4, vcc, s16, v126
	v_addc_co_u32_e32 v5, vcc, v30, v127, vcc
	global_load_dwordx2 v[4:5], v[4:5], off
	v_fma_f64 v[20:21], v[20:21], v[94:95], v[10:11]
	v_add_u32_e32 v28, s8, v28
	v_ashrrev_i32_e32 v29, 31, v28
	s_waitcnt vmcnt(0)
	v_add_f64 v[4:5], v[4:5], -v[66:67]
	v_mul_f64 v[16:17], v[2:3], v[4:5]
	v_add_co_u32_e32 v2, vcc, s16, v120
	v_addc_co_u32_e32 v3, vcc, v30, v121, vcc
	global_load_dwordx2 v[2:3], v[2:3], off
	s_waitcnt vmcnt(0)
	v_add_f64 v[2:3], v[2:3], -v[66:67]
	v_fmac_f64_e32 v[16:17], v[118:119], v[2:3]
	v_add_u32_e32 v2, v13, v110
	v_ashrrev_i32_e32 v3, 31, v2
	v_lshlrev_b64 v[2:3], 3, v[2:3]
	v_add_co_u32_e32 v4, vcc, s18, v2
	v_addc_co_u32_e32 v5, vcc, v111, v3, vcc
	v_add_co_u32_e32 v2, vcc, s20, v2
	v_addc_co_u32_e32 v3, vcc, v34, v3, vcc
	v_add_u32_e32 v34, s8, v6
	v_add_u32_e32 v64, s8, v34
	v_ashrrev_i32_e32 v65, 31, v64
	v_lshlrev_b64 v[64:65], 3, v[64:65]
	v_add_co_u32_e32 v118, vcc, s22, v64
	v_ashrrev_i32_e32 v35, 31, v34
	v_addc_co_u32_e32 v119, vcc, v12, v65, vcc
	v_lshlrev_b64 v[34:35], 3, v[34:35]
	global_load_dwordx2 v[64:65], v[4:5], off
	global_load_dwordx2 v[116:117], v[2:3], off
	v_add_co_u32_e32 v2, vcc, s22, v34
	v_addc_co_u32_e32 v3, vcc, v12, v35, vcc
	global_load_dwordx2 v[110:111], v[2:3], off
	s_nop 0
	global_load_dwordx2 v[118:119], v[118:119], off
	v_add_u32_e32 v6, s6, v6
	v_ashrrev_i32_e32 v7, 31, v6
	s_waitcnt vmcnt(2)
	v_add_f64 v[26:27], v[64:65], v[116:117]
	s_waitcnt vmcnt(1)
	v_mul_f64 v[2:3], v[26:27], v[110:111]
	s_waitcnt vmcnt(0)
	v_fmac_f64_e32 v[22:23], v[2:3], v[118:119]
	v_fmac_f64_e32 v[22:23], 0x40080000, v[20:21]
	v_add_u32_e32 v20, s6, v46
	v_ashrrev_i32_e32 v21, 31, v20
	v_lshlrev_b64 v[50:51], 3, v[20:21]
	v_add_co_u32_e32 v80, vcc, s16, v50
	v_addc_co_u32_e32 v81, vcc, v30, v51, vcc
	global_load_dwordx2 v[80:81], v[80:81], off
	v_fmac_f64_e32 v[10:11], v[2:3], v[118:119]
	v_fmac_f64_e32 v[32:33], 0xbfe80000, v[10:11]
	v_add_u32_e32 v20, s8, v20
	v_ashrrev_i32_e32 v21, 31, v20
	v_lshlrev_b64 v[20:21], 3, v[20:21]
	s_waitcnt vmcnt(0)
	v_add_f64 v[80:81], v[80:81], -v[66:67]
	v_fmac_f64_e32 v[16:17], v[22:23], v[80:81]
	v_lshlrev_b64 v[22:23], 3, v[6:7]
	v_add_co_u32_e32 v10, vcc, s16, v22
	v_addc_co_u32_e32 v11, vcc, v30, v23, vcc
	global_load_dwordx2 v[10:11], v[10:11], off
	s_waitcnt vmcnt(0)
	v_add_f64 v[10:11], v[10:11], -v[66:67]
	v_fmac_f64_e32 v[16:17], v[32:33], v[10:11]
	v_add_u32_e32 v10, s8, v68
	v_ashrrev_i32_e32 v11, 31, v10
	v_lshlrev_b64 v[10:11], 3, v[10:11]
	v_add_co_u32_e32 v32, vcc, s22, v10
	v_addc_co_u32_e32 v33, vcc, v12, v11, vcc
	global_load_dwordx2 v[68:69], v[32:33], off
	v_lshlrev_b64 v[32:33], 3, v[28:29]
	v_add_co_u32_e32 v28, vcc, s22, v32
	v_addc_co_u32_e32 v29, vcc, v12, v33, vcc
	global_load_dwordx2 v[66:67], v[28:29], off
	s_nop 0
	buffer_store_dword v38, off, s[36:39], 0 offset:200 ; 4-byte Folded Spill
	s_nop 0
	buffer_store_dword v39, off, s[36:39], 0 offset:204 ; 4-byte Folded Spill
	s_waitcnt vmcnt(3)
	v_mul_f64 v[80:81], v[78:79], v[68:69]
	v_add_co_u32_e32 v28, vcc, s22, v38
	v_addc_co_u32_e32 v29, vcc, v12, v39, vcc
	global_load_dwordx2 v[28:29], v[28:29], off
	s_waitcnt vmcnt(3)
	v_mul_f64 v[4:5], v[76:77], v[66:67]
	s_waitcnt vmcnt(0)
	v_mul_f64 v[0:1], v[0:1], v[28:29]
	v_mul_f64 v[78:79], v[122:123], v[0:1]
	v_mul_f64 v[0:1], v[86:87], v[4:5]
	v_fma_f64 v[38:39], v[114:115], v[80:81], v[78:79]
	v_pk_mov_b32 v[2:3], v[0:1], v[0:1] op_sel:[0,1]
	v_fmac_f64_e32 v[2:3], 0xbfe80000, v[38:39]
	v_add_co_u32_e32 v38, vcc, s22, v20
	v_addc_co_u32_e32 v39, vcc, v12, v21, vcc
	global_load_dwordx2 v[76:77], v[38:39], off
	v_fma_f64 v[4:5], v[86:87], v[4:5], v[78:79]
	s_waitcnt vmcnt(0)
	v_mul_f64 v[38:39], v[36:37], v[76:77]
	v_mul_f64 v[46:47], v[94:95], v[38:39]
	v_fma_f64 v[36:37], v[114:115], v[80:81], v[46:47]
	v_fmac_f64_e32 v[36:37], 0x40080000, v[4:5]
	v_add_co_u32_e32 v4, vcc, s16, v24
	v_addc_co_u32_e32 v5, vcc, v30, v25, vcc
	v_add_co_u32_e32 v8, vcc, s16, v8
	v_addc_co_u32_e32 v9, vcc, v30, v9, vcc
	;; [unrolled: 2-line block ×3, first 2 shown]
	global_load_dwordx2 v[8:9], v[8:9], off
	s_nop 0
	global_load_dwordx2 v[24:25], v[24:25], off
	s_waitcnt vmcnt(0)
	v_add_f64 v[24:25], v[24:25], -v[8:9]
	global_load_dwordx2 v[4:5], v[4:5], off
	v_mul_f64 v[24:25], v[36:37], v[24:25]
	s_waitcnt vmcnt(0)
	v_add_f64 v[4:5], v[4:5], -v[8:9]
	v_fmac_f64_e32 v[24:25], v[2:3], v[4:5]
	v_add_u32_e32 v2, s8, v6
	v_ashrrev_i32_e32 v3, 31, v2
	v_lshlrev_b64 v[2:3], 3, v[2:3]
	v_add_co_u32_e32 v4, vcc, s22, v2
	v_addc_co_u32_e32 v5, vcc, v12, v3, vcc
	global_load_dwordx2 v[36:37], v[4:5], off
	v_fma_f64 v[6:7], v[94:95], v[38:39], v[78:79]
	s_waitcnt vmcnt(0)
	v_mul_f64 v[4:5], v[26:27], v[36:37]
	v_fmac_f64_e32 v[0:1], v[118:119], v[4:5]
	v_fmac_f64_e32 v[0:1], 0x40080000, v[6:7]
	v_add_co_u32_e32 v6, vcc, s16, v18
	v_addc_co_u32_e32 v7, vcc, v30, v19, vcc
	global_load_dwordx2 v[6:7], v[6:7], off
	v_fmac_f64_e32 v[78:79], v[118:119], v[4:5]
	v_fmac_f64_e32 v[46:47], 0xbfe80000, v[78:79]
	v_mul_f64 v[4:5], v[52:53], v[28:29]
	v_mul_f64 v[4:5], v[28:29], v[4:5]
	;; [unrolled: 1-line block ×3, first 2 shown]
	s_waitcnt vmcnt(0)
	v_add_f64 v[6:7], v[6:7], -v[8:9]
	v_fmac_f64_e32 v[24:25], v[0:1], v[6:7]
	v_add_co_u32_e32 v0, vcc, s16, v34
	v_addc_co_u32_e32 v1, vcc, v30, v35, vcc
	global_load_dwordx2 v[0:1], v[0:1], off
	v_pk_mov_b32 v[34:35], v[42:43], v[42:43] op_sel:[0,1]
	v_mul_f64 v[6:7], v[52:53], v[76:77]
	v_mul_f64 v[6:7], v[76:77], v[6:7]
	;; [unrolled: 1-line block ×3, first 2 shown]
	v_pk_mov_b32 v[42:43], v[52:53], v[52:53] op_sel:[0,1]
	v_pk_mov_b32 v[44:45], v[54:55], v[54:55] op_sel:[0,1]
	s_waitcnt vmcnt(0)
	v_add_f64 v[0:1], v[0:1], -v[8:9]
	v_fmac_f64_e32 v[24:25], v[46:47], v[0:1]
	v_mul_f64 v[0:1], v[106:107], v[124:125]
	v_mul_f64 v[0:1], v[124:125], v[0:1]
	v_fmac_f64_e32 v[4:5], v[106:107], v[0:1]
	v_mul_f64 v[8:9], v[92:93], v[4:5]
	v_mul_f64 v[0:1], v[14:15], v[122:123]
	;; [unrolled: 1-line block ×3, first 2 shown]
	v_fmac_f64_e32 v[8:9], v[122:123], v[0:1]
	v_mul_f64 v[0:1], v[106:107], v[100:101]
	v_mul_f64 v[4:5], v[68:69], v[4:5]
	;; [unrolled: 1-line block ×4, first 2 shown]
	v_fmac_f64_e32 v[4:5], v[106:107], v[0:1]
	v_fma_f64 v[0:1], 2.0, v[48:49], v[112:113]
	v_mul_f64 v[0:1], v[0:1], v[114:115]
	v_mul_f64 v[14:15], v[48:49], v[4:5]
	;; [unrolled: 1-line block ×3, first 2 shown]
	v_fmac_f64_e32 v[14:15], v[114:115], v[0:1]
	v_mul_f64 v[0:1], v[106:107], v[98:99]
	v_mul_f64 v[4:5], v[66:67], v[4:5]
	;; [unrolled: 1-line block ×4, first 2 shown]
	v_fmac_f64_e32 v[4:5], v[106:107], v[0:1]
	v_fma_f64 v[0:1], 2.0, v[34:35], v[84:85]
	v_mul_f64 v[0:1], v[0:1], v[86:87]
	v_mul_f64 v[4:5], v[34:35], v[4:5]
	v_fmac_f64_e32 v[4:5], v[86:87], v[0:1]
	v_mul_f64 v[0:1], v[106:107], v[104:105]
	v_mul_f64 v[0:1], v[104:105], v[0:1]
	v_fmac_f64_e32 v[6:7], v[106:107], v[0:1]
	v_fma_f64 v[0:1], 2.0, v[58:59], v[90:91]
	v_mul_f64 v[0:1], v[0:1], v[94:95]
	v_mul_f64 v[6:7], v[58:59], v[6:7]
	v_fmac_f64_e32 v[6:7], v[94:95], v[0:1]
	v_add_f64 v[0:1], v[14:15], v[8:9]
	v_pk_mov_b32 v[18:19], v[4:5], v[4:5] op_sel:[0,1]
	v_fmac_f64_e32 v[18:19], 0xbfe80000, v[0:1]
	v_add_f64 v[0:1], v[14:15], v[6:7]
	v_add_f64 v[14:15], v[4:5], v[8:9]
	v_fmac_f64_e32 v[0:1], 0x40080000, v[14:15]
	v_add_co_u32_e32 v14, vcc, s16, v10
	v_addc_co_u32_e32 v15, vcc, v30, v11, vcc
	v_add_co_u32_e32 v10, vcc, s16, v32
	v_addc_co_u32_e32 v11, vcc, v30, v33, vcc
	global_load_dwordx2 v[10:11], v[10:11], off
	v_mul_f64 v[124:125], v[96:97], s[0:1]
	buffer_load_dword v53, off, s[36:39], 0 offset:252 ; 4-byte Folded Reload
	buffer_load_dword v47, off, s[36:39], 0 offset:248 ; 4-byte Folded Reload
	;; [unrolled: 1-line block ×4, first 2 shown]
	v_mul_f64 v[92:93], v[102:103], s[0:1]
	v_mul_f64 v[32:33], v[16:17], s[0:1]
	s_waitcnt vmcnt(4)
	v_add_f64 v[10:11], v[10:11], -v[88:89]
	v_mul_f64 v[10:11], v[0:1], v[10:11]
	global_load_dwordx2 v[0:1], v[14:15], off
	v_mul_f64 v[14:15], v[42:43], v[36:37]
	v_mul_f64 v[14:15], v[36:37], v[14:15]
	;; [unrolled: 1-line block ×3, first 2 shown]
	s_waitcnt vmcnt(2)
	v_add3_u32 v26, v13, v46, s6
	v_ashrrev_i32_e32 v27, 31, v26
	v_add3_u32 v38, v56, v46, s6
	v_ashrrev_i32_e32 v39, 31, v38
	v_lshlrev_b64 v[40:41], 3, v[38:39]
	s_waitcnt vmcnt(0)
	v_add_f64 v[0:1], v[0:1], -v[88:89]
	v_fmac_f64_e32 v[10:11], v[18:19], v[0:1]
	v_mul_f64 v[0:1], v[106:107], v[110:111]
	v_mul_f64 v[0:1], v[110:111], v[0:1]
	v_fmac_f64_e32 v[14:15], v[106:107], v[0:1]
	v_fma_f64 v[0:1], 2.0, v[64:65], v[116:117]
	v_mul_f64 v[18:19], v[0:1], v[118:119]
	v_mul_f64 v[0:1], v[64:65], v[14:15]
	v_fmac_f64_e32 v[0:1], v[118:119], v[18:19]
	v_add_f64 v[4:5], v[4:5], v[0:1]
	v_add_f64 v[14:15], v[8:9], v[6:7]
	v_fmac_f64_e32 v[4:5], 0x40080000, v[14:15]
	v_add_co_u32_e32 v14, vcc, s16, v20
	v_addc_co_u32_e32 v15, vcc, v30, v21, vcc
	v_add_f64 v[0:1], v[8:9], v[0:1]
	v_fmac_f64_e32 v[6:7], 0xbfe80000, v[0:1]
	v_add_co_u32_e32 v0, vcc, s16, v2
	global_load_dwordx2 v[18:19], v[14:15], off
	v_addc_co_u32_e32 v1, vcc, v30, v3, vcc
	global_load_dwordx2 v[0:1], v[0:1], off
	v_add_co_u32_e32 v2, vcc, s22, v22
	v_addc_co_u32_e32 v3, vcc, v12, v23, vcc
	v_add3_u32 v8, v13, v52, s6
	v_ashrrev_i32_e32 v9, 31, v8
	v_add3_u32 v20, v13, v47, s6
	v_ashrrev_i32_e32 v21, 31, v20
	s_waitcnt vmcnt(1)
	v_add_f64 v[14:15], v[18:19], -v[88:89]
	v_fmac_f64_e32 v[10:11], v[4:5], v[14:15]
	v_lshlrev_b64 v[14:15], 3, v[8:9]
	s_waitcnt vmcnt(0)
	v_add_f64 v[0:1], v[0:1], -v[88:89]
	v_fmac_f64_e32 v[10:11], v[6:7], v[0:1]
	v_add3_u32 v6, v13, v53, s6
	v_ashrrev_i32_e32 v7, 31, v6
	v_lshlrev_b64 v[4:5], 3, v[6:7]
	v_add_co_u32_e32 v4, vcc, s16, v4
	v_addc_co_u32_e32 v5, vcc, v30, v5, vcc
	v_add_co_u32_e32 v14, vcc, s16, v14
	v_addc_co_u32_e32 v15, vcc, v30, v15, vcc
	v_lshlrev_b64 v[18:19], 3, v[20:21]
	v_add_co_u32_e32 v22, vcc, s16, v18
	v_addc_co_u32_e32 v23, vcc, v30, v19, vcc
	v_lshlrev_b64 v[18:19], 3, v[26:27]
	v_add_co_u32_e32 v28, vcc, s16, v18
	v_mul_f64 v[0:1], v[116:117], v[118:119]
	v_addc_co_u32_e32 v29, vcc, v30, v19, vcc
	global_load_dwordx2 v[4:5], v[4:5], off
	s_nop 0
	global_load_dwordx2 v[18:19], v[14:15], off
	global_load_dwordx2 v[122:123], v[22:23], off
	;; [unrolled: 1-line block ×3, first 2 shown]
	v_add_u32_e32 v6, s8, v6
	v_mul_f64 v[14:15], v[24:25], s[0:1]
	v_ashrrev_i32_e32 v7, 31, v6
	buffer_store_dword v14, off, s[36:39], 0 offset:256 ; 4-byte Folded Spill
	s_nop 0
	buffer_store_dword v15, off, s[36:39], 0 offset:260 ; 4-byte Folded Spill
	v_mul_f64 v[24:25], v[10:11], s[0:1]
	s_mov_b32 s1, 0xbfb55555
	v_lshlrev_b64 v[6:7], 3, v[6:7]
	v_add_u32_e32 v8, s8, v8
	v_add_co_u32_e32 v6, vcc, s16, v6
	v_ashrrev_i32_e32 v9, 31, v8
	v_addc_co_u32_e32 v7, vcc, v30, v7, vcc
	v_lshlrev_b64 v[8:9], 3, v[8:9]
	v_add_co_u32_e32 v8, vcc, s16, v8
	v_addc_co_u32_e32 v9, vcc, v30, v9, vcc
	v_pk_mov_b32 v[88:89], v[34:35], v[34:35] op_sel:[0,1]
	s_waitcnt vmcnt(4)
	v_add_f64 v[10:11], v[4:5], -v[18:19]
	v_mul_f64 v[14:15], v[10:11], s[0:1]
	s_waitcnt vmcnt(2)
	v_add_f64 v[10:11], v[122:123], -v[118:119]
	v_fmac_f64_e32 v[14:15], s[4:5], v[10:11]
	v_add_u32_e32 v10, s8, v20
	v_ashrrev_i32_e32 v11, 31, v10
	v_lshlrev_b64 v[10:11], 3, v[10:11]
	v_add_co_u32_e32 v20, vcc, s16, v10
	v_add_u32_e32 v10, s8, v26
	v_addc_co_u32_e32 v21, vcc, v30, v11, vcc
	v_ashrrev_i32_e32 v11, 31, v10
	v_lshlrev_b64 v[10:11], 3, v[10:11]
	v_add_co_u32_e32 v22, vcc, s16, v10
	v_addc_co_u32_e32 v23, vcc, v30, v11, vcc
	global_load_dwordx2 v[10:11], v[6:7], off
	global_load_dwordx2 v[16:17], v[8:9], off
	;; [unrolled: 1-line block ×5, first 2 shown]
	v_mul_f64 v[2:3], v[64:65], v[110:111]
	v_div_fixup_f64 v[110:111], v[82:83], v[42:43], 1.0
	v_add_co_u32_e32 v28, vcc, s22, v120
	v_addc_co_u32_e32 v29, vcc, v12, v121, vcc
	v_add3_u32 v20, v56, v47, s6
	v_ashrrev_i32_e32 v21, 31, v20
	v_lshlrev_b64 v[22:23], 3, v[20:21]
	v_mul_f64 v[26:27], v[112:113], v[114:115]
	v_add_u32_e32 v20, s8, v20
	v_ashrrev_i32_e32 v21, 31, v20
	v_lshlrev_b64 v[20:21], 3, v[20:21]
	s_waitcnt vmcnt(3)
	v_add_f64 v[6:7], v[10:11], -v[16:17]
	v_mul_f64 v[6:7], v[6:7], s[0:1]
	s_waitcnt vmcnt(1)
	v_add_f64 v[8:9], v[78:79], -v[116:117]
	s_waitcnt vmcnt(0)
	v_mul_f64 v[0:1], v[0:1], v[96:97]
	buffer_store_dword v0, off, s[36:39], 0 offset:264 ; 4-byte Folded Spill
	s_nop 0
	buffer_store_dword v1, off, s[36:39], 0 offset:268 ; 4-byte Folded Spill
	v_fmac_f64_e32 v[6:7], s[4:5], v[8:9]
	v_mul_f64 v[2:3], v[2:3], v[96:97]
	v_mul_f64 v[2:3], v[2:3], v[6:7]
	;; [unrolled: 1-line block ×4, first 2 shown]
	v_add3_u32 v2, v56, v53, s6
	v_mul_f64 v[0:1], v[110:111], v[0:1]
	v_ashrrev_i32_e32 v3, 31, v2
	v_fmac_f64_e32 v[0:1], v[110:111], v[6:7]
	v_lshlrev_b64 v[6:7], 3, v[2:3]
	v_add3_u32 v14, v56, v52, s6
	v_add_co_u32_e32 v6, vcc, s16, v6
	v_ashrrev_i32_e32 v15, 31, v14
	v_addc_co_u32_e32 v7, vcc, v30, v7, vcc
	v_lshlrev_b64 v[8:9], 3, v[14:15]
	v_add_co_u32_e32 v8, vcc, s16, v8
	v_addc_co_u32_e32 v9, vcc, v30, v9, vcc
	v_add_co_u32_e32 v22, vcc, s16, v22
	v_addc_co_u32_e32 v23, vcc, v30, v23, vcc
	;; [unrolled: 2-line block ×3, first 2 shown]
	global_load_dwordx2 v[6:7], v[6:7], off
	s_nop 0
	global_load_dwordx2 v[8:9], v[8:9], off
	s_nop 0
	global_load_dwordx2 v[120:121], v[22:23], off
	global_load_dwordx2 v[114:115], v[40:41], off
	v_add_u32_e32 v2, s8, v2
	v_ashrrev_i32_e32 v3, 31, v2
	v_lshlrev_b64 v[2:3], 3, v[2:3]
	v_add_u32_e32 v14, s8, v14
	v_add_co_u32_e32 v2, vcc, s16, v2
	v_ashrrev_i32_e32 v15, 31, v14
	v_addc_co_u32_e32 v3, vcc, v30, v3, vcc
	v_lshlrev_b64 v[14:15], 3, v[14:15]
	v_add_co_u32_e32 v14, vcc, s16, v14
	v_addc_co_u32_e32 v15, vcc, v30, v15, vcc
	v_add_co_u32_e32 v20, vcc, s16, v20
	v_addc_co_u32_e32 v21, vcc, v30, v21, vcc
	s_waitcnt vmcnt(2)
	v_add_f64 v[22:23], v[6:7], -v[8:9]
	v_mul_f64 v[40:41], v[22:23], s[0:1]
	s_waitcnt vmcnt(0)
	v_add_f64 v[22:23], v[120:121], -v[114:115]
	v_fmac_f64_e32 v[40:41], s[4:5], v[22:23]
	v_add_u32_e32 v22, s8, v38
	v_ashrrev_i32_e32 v23, 31, v22
	v_lshlrev_b64 v[22:23], 3, v[22:23]
	v_add_co_u32_e32 v38, vcc, s16, v22
	v_addc_co_u32_e32 v39, vcc, v30, v23, vcc
	global_load_dwordx2 v[22:23], v[2:3], off
	s_nop 0
	global_load_dwordx2 v[2:3], v[14:15], off
	s_nop 0
	;; [unrolled: 2-line block ×3, first 2 shown]
	global_load_dwordx2 v[112:113], v[38:39], off
	global_load_dwordx2 v[102:103], v[28:29], off
	v_mul_f64 v[28:29], v[48:49], v[100:101]
	v_add_f64 v[8:9], v[18:19], -v[8:9]
	v_mul_f64 v[8:9], v[8:9], s[0:1]
	s_waitcnt vmcnt(4)
	v_add_f64 v[10:11], v[10:11], -v[22:23]
	s_waitcnt vmcnt(3)
	v_add_f64 v[14:15], v[22:23], -v[2:3]
	v_mul_f64 v[14:15], v[14:15], s[0:1]
	s_waitcnt vmcnt(1)
	v_add_f64 v[38:39], v[20:21], -v[112:113]
	s_waitcnt vmcnt(0)
	v_mul_f64 v[26:27], v[26:27], v[102:103]
	buffer_store_dword v26, off, s[36:39], 0 offset:272 ; 4-byte Folded Spill
	s_nop 0
	buffer_store_dword v27, off, s[36:39], 0 offset:276 ; 4-byte Folded Spill
	v_fmac_f64_e32 v[14:15], s[4:5], v[38:39]
	v_mul_f64 v[28:29], v[28:29], v[102:103]
	v_mul_f64 v[14:15], v[28:29], v[14:15]
	;; [unrolled: 1-line block ×5, first 2 shown]
	v_add_f64 v[16:17], v[16:17], -v[2:3]
	v_mul_f64 v[16:17], v[16:17], s[0:1]
	v_add_f64 v[20:21], v[78:79], -v[20:21]
	v_mul_f64 v[20:21], v[20:21], s[0:1]
	v_mul_f64 v[26:27], v[26:27], v[40:41]
	v_fmac_f64_e32 v[14:15], v[110:111], v[26:27]
	v_add_f64 v[0:1], v[0:1], -v[14:15]
	buffer_load_dword v14, off, s[36:39], 0 offset:232 ; 4-byte Folded Reload
	buffer_load_dword v15, off, s[36:39], 0 offset:236 ; 4-byte Folded Reload
	v_mul_f64 v[82:83], v[0:1], s[0:1]
	buffer_load_dword v28, off, s[36:39], 0 offset:228 ; 4-byte Folded Reload
	v_add_f64 v[40:41], v[4:5], -v[6:7]
	s_waitcnt vmcnt(1)
	v_div_fixup_f64 v[80:81], v[14:15], v[106:107], 1.0
	v_mul_f64 v[0:1], v[80:81], v[110:111]
	v_fmac_f64_e32 v[82:83], v[0:1], v[24:25]
	v_add3_u32 v0, v31, v53, s6
	v_ashrrev_i32_e32 v1, 31, v0
	v_lshlrev_b64 v[14:15], 3, v[0:1]
	v_add_u32_e32 v0, s8, v0
	v_add_co_u32_e32 v24, vcc, s16, v14
	v_ashrrev_i32_e32 v1, 31, v0
	v_addc_co_u32_e32 v25, vcc, v30, v15, vcc
	v_lshlrev_b64 v[0:1], 3, v[0:1]
	v_add3_u32 v14, v57, v53, s6
	v_add_co_u32_e32 v0, vcc, s16, v0
	v_ashrrev_i32_e32 v15, 31, v14
	v_addc_co_u32_e32 v1, vcc, v30, v1, vcc
	v_lshlrev_b64 v[26:27], 3, v[14:15]
	v_add_co_u32_e32 v26, vcc, s16, v26
	v_addc_co_u32_e32 v27, vcc, v30, v27, vcc
	global_load_dwordx2 v[4:5], v[24:25], off
	global_load_dwordx2 v[6:7], v[26:27], off
	v_add_u32_e32 v14, s8, v14
	v_ashrrev_i32_e32 v15, 31, v14
	v_lshlrev_b64 v[14:15], 3, v[14:15]
	s_waitcnt vmcnt(2)
	v_add_u32_e32 v28, s9, v28
	v_add_co_u32_e32 v14, vcc, s16, v14
	v_ashrrev_i32_e32 v29, 31, v28
	v_mul_f64 v[24:25], v[40:41], s[0:1]
	v_addc_co_u32_e32 v15, vcc, v30, v15, vcc
	v_lshlrev_b64 v[38:39], 3, v[28:29]
	v_add_co_u32_e32 v38, vcc, s22, v38
	v_addc_co_u32_e32 v39, vcc, v12, v39, vcc
	s_waitcnt vmcnt(0)
	v_add_f64 v[26:27], v[4:5], -v[6:7]
	v_fmac_f64_e32 v[24:25], s[4:5], v[26:27]
	v_subrev_u32_e32 v26, s8, v28
	v_ashrrev_i32_e32 v27, 31, v26
	v_lshlrev_b64 v[26:27], 3, v[26:27]
	v_add_co_u32_e32 v26, vcc, s22, v26
	v_addc_co_u32_e32 v27, vcc, v12, v27, vcc
	global_load_dwordx2 v[28:29], v[38:39], off
	s_nop 0
	global_load_dwordx2 v[26:27], v[26:27], off
	s_nop 0
	;; [unrolled: 2-line block ×3, first 2 shown]
	global_load_dwordx2 v[0:1], v[14:15], off
	s_waitcnt vmcnt(3)
	v_mul_f64 v[28:29], v[72:73], v[28:29]
	s_waitcnt vmcnt(2)
	v_mul_f64 v[26:27], v[72:73], v[26:27]
	s_waitcnt vmcnt(0)
	v_add_f64 v[14:15], v[38:39], -v[0:1]
	v_mul_f64 v[26:27], v[74:75], v[26:27]
	v_fmac_f64_e32 v[10:11], s[4:5], v[14:15]
	v_mul_f64 v[10:11], v[10:11], v[26:27]
	v_mul_f64 v[28:29], v[74:75], v[28:29]
	;; [unrolled: 1-line block ×3, first 2 shown]
	v_fmac_f64_e32 v[10:11], v[24:25], v[28:29]
	v_mov_b32_e32 v24, v52
	v_add3_u32 v14, v31, v24, s6
	v_ashrrev_i32_e32 v15, 31, v14
	v_lshlrev_b64 v[22:23], 3, v[14:15]
	v_add_u32_e32 v14, s8, v14
	v_add_co_u32_e32 v22, vcc, s16, v22
	v_ashrrev_i32_e32 v15, 31, v14
	v_addc_co_u32_e32 v23, vcc, v30, v23, vcc
	v_lshlrev_b64 v[14:15], 3, v[14:15]
	v_add3_u32 v24, v57, v24, s6
	v_add_co_u32_e32 v14, vcc, s16, v14
	v_ashrrev_i32_e32 v25, 31, v24
	v_addc_co_u32_e32 v15, vcc, v30, v15, vcc
	v_lshlrev_b64 v[26:27], 3, v[24:25]
	v_add_co_u32_e32 v26, vcc, s16, v26
	buffer_load_dword v28, off, s[36:39], 0 offset:224 ; 4-byte Folded Reload
	v_addc_co_u32_e32 v27, vcc, v30, v27, vcc
	global_load_dwordx2 v[72:73], v[22:23], off
	global_load_dwordx2 v[70:71], v[26:27], off
	v_add_u32_e32 v24, s8, v24
	v_ashrrev_i32_e32 v25, 31, v24
	v_lshlrev_b64 v[24:25], 3, v[24:25]
	v_add_co_u32_e32 v24, vcc, s16, v24
	v_addc_co_u32_e32 v25, vcc, v30, v25, vcc
	s_waitcnt vmcnt(2)
	v_add_u32_e32 v28, s9, v28
	v_ashrrev_i32_e32 v29, 31, v28
	v_lshlrev_b64 v[40:41], 3, v[28:29]
	s_waitcnt vmcnt(0)
	v_add_f64 v[18:19], v[72:73], -v[70:71]
	v_fmac_f64_e32 v[8:9], s[4:5], v[18:19]
	v_subrev_u32_e32 v18, s8, v28
	v_add_co_u32_e32 v40, vcc, s22, v40
	v_ashrrev_i32_e32 v19, 31, v18
	v_addc_co_u32_e32 v41, vcc, v12, v41, vcc
	v_lshlrev_b64 v[18:19], 3, v[18:19]
	v_add_co_u32_e32 v18, vcc, s22, v18
	v_addc_co_u32_e32 v19, vcc, v12, v19, vcc
	global_load_dwordx2 v[22:23], v[40:41], off
	s_nop 0
	global_load_dwordx2 v[18:19], v[18:19], off
	s_nop 0
	;; [unrolled: 2-line block ×3, first 2 shown]
	global_load_dwordx2 v[2:3], v[24:25], off
	buffer_load_dword v52, off, s[36:39], 0 offset:208 ; 4-byte Folded Reload
	buffer_load_dword v53, off, s[36:39], 0 offset:212 ; 4-byte Folded Reload
	;; [unrolled: 1-line block ×4, first 2 shown]
	v_add_f64 v[4:5], v[4:5], -v[72:73]
	v_mul_f64 v[4:5], v[4:5], s[0:1]
	s_waitcnt vmcnt(7)
	v_mul_f64 v[22:23], v[60:61], v[22:23]
	s_waitcnt vmcnt(6)
	v_mul_f64 v[18:19], v[60:61], v[18:19]
	v_mul_f64 v[26:27], v[62:63], v[22:23]
	s_waitcnt vmcnt(4)
	v_add_f64 v[22:23], v[14:15], -v[2:3]
	v_mul_f64 v[18:19], v[62:63], v[18:19]
	v_fmac_f64_e32 v[16:17], s[4:5], v[22:23]
	v_mul_f64 v[16:17], v[16:17], v[18:19]
	s_waitcnt vmcnt(2)
	v_mul_f64 v[22:23], v[52:53], v[16:17]
	v_fmac_f64_e32 v[22:23], v[8:9], v[26:27]
	v_mov_b32_e32 v26, v47
	v_add3_u32 v8, v31, v26, s6
	v_add_u32_e32 v18, s8, v8
	v_mov_b32_e32 v9, v46
	v_add_co_u32_e32 v16, vcc, s22, v50
	v_add_f64 v[14:15], v[38:39], -v[14:15]
	v_ashrrev_i32_e32 v19, 31, v18
	v_add3_u32 v38, v31, v9, s6
	v_addc_co_u32_e32 v17, vcc, v12, v51, vcc
	v_lshlrev_b64 v[18:19], 3, v[18:19]
	v_add_u32_e32 v24, s8, v38
	v_add_co_u32_e32 v18, vcc, s16, v18
	v_ashrrev_i32_e32 v25, 31, v24
	v_addc_co_u32_e32 v19, vcc, v30, v19, vcc
	v_lshlrev_b64 v[24:25], 3, v[24:25]
	v_add_co_u32_e32 v24, vcc, s16, v24
	v_addc_co_u32_e32 v25, vcc, v30, v25, vcc
	global_load_dwordx2 v[40:41], v[18:19], off
	s_nop 0
	global_load_dwordx2 v[18:19], v[24:25], off
	global_load_dwordx2 v[60:61], v[16:17], off
	v_mul_f64 v[14:15], v[14:15], s[0:1]
	v_mul_f64 v[16:17], v[58:59], v[104:105]
	v_add3_u32 v26, v57, v26, s6
	v_add_f64 v[2:3], v[0:1], -v[2:3]
	v_add_u32_e32 v0, s8, v26
	v_ashrrev_i32_e32 v1, 31, v0
	v_lshlrev_b64 v[0:1], 3, v[0:1]
	v_mul_f64 v[2:3], v[2:3], s[0:1]
	v_ashrrev_i32_e32 v27, 31, v26
	v_ashrrev_i32_e32 v39, 31, v38
	s_waitcnt vmcnt(1)
	v_add_f64 v[24:25], v[40:41], -v[18:19]
	v_fmac_f64_e32 v[14:15], s[4:5], v[24:25]
	s_waitcnt vmcnt(0)
	v_mul_f64 v[16:17], v[16:17], v[60:61]
	v_mul_f64 v[14:15], v[16:17], v[14:15]
	v_add_co_u32_e32 v16, vcc, s22, v126
	v_add3_u32 v24, v57, v9, s6
	v_addc_co_u32_e32 v17, vcc, v12, v127, vcc
	v_add_u32_e32 v28, s8, v24
	v_add_co_u32_e32 v0, vcc, s16, v0
	v_ashrrev_i32_e32 v29, 31, v28
	v_addc_co_u32_e32 v1, vcc, v30, v1, vcc
	v_lshlrev_b64 v[28:29], 3, v[28:29]
	v_add_co_u32_e32 v28, vcc, s16, v28
	v_addc_co_u32_e32 v29, vcc, v30, v29, vcc
	global_load_dwordx2 v[46:47], v[0:1], off
	s_nop 0
	global_load_dwordx2 v[0:1], v[28:29], off
	global_load_dwordx2 v[62:63], v[16:17], off
	buffer_load_dword v9, off, s[36:39], 0 offset:180 ; 4-byte Folded Reload
	v_mul_f64 v[16:17], v[34:35], v[98:99]
	v_ashrrev_i32_e32 v25, 31, v24
	s_waitcnt vmcnt(3)
	v_add_f64 v[40:41], v[40:41], -v[46:47]
	s_waitcnt vmcnt(2)
	v_add_f64 v[28:29], v[46:47], -v[0:1]
	v_fmac_f64_e32 v[2:3], s[4:5], v[28:29]
	s_waitcnt vmcnt(1)
	v_mul_f64 v[16:17], v[16:17], v[62:63]
	s_waitcnt vmcnt(0)
	v_add_u32_e32 v28, s9, v9
	v_mul_f64 v[2:3], v[16:17], v[2:3]
	v_subrev_u32_e32 v16, s8, v28
	v_ashrrev_i32_e32 v17, 31, v16
	v_lshlrev_b64 v[16:17], 3, v[16:17]
	v_add_co_u32_e32 v16, vcc, s22, v16
	v_addc_co_u32_e32 v17, vcc, v12, v17, vcc
	global_load_dwordx2 v[16:17], v[16:17], off
	s_nop 0
	buffer_load_dword v46, off, s[36:39], 0 offset:184 ; 4-byte Folded Reload
	buffer_load_dword v47, off, s[36:39], 0 offset:188 ; 4-byte Folded Reload
	;; [unrolled: 1-line block ×4, first 2 shown]
	v_ashrrev_i32_e32 v9, 31, v8
	v_lshlrev_b64 v[8:9], 3, v[8:9]
	v_fmac_f64_e32 v[20:21], s[4:5], v[40:41]
	v_add_co_u32_e32 v8, vcc, s16, v8
	v_addc_co_u32_e32 v9, vcc, v30, v9, vcc
	v_ashrrev_i32_e32 v29, 31, v28
	v_add_f64 v[0:1], v[18:19], -v[0:1]
	s_waitcnt vmcnt(2)
	v_mul_f64 v[16:17], v[46:47], v[16:17]
	s_waitcnt vmcnt(0)
	v_mul_f64 v[16:17], v[50:51], v[16:17]
	v_mul_f64 v[40:41], v[20:21], v[16:17]
	;; [unrolled: 1-line block ×3, first 2 shown]
	v_lshlrev_b64 v[14:15], 3, v[26:27]
	v_add_co_u32_e32 v14, vcc, s16, v14
	v_addc_co_u32_e32 v15, vcc, v30, v15, vcc
	v_lshlrev_b64 v[26:27], 3, v[28:29]
	v_add_co_u32_e32 v26, vcc, s22, v26
	v_addc_co_u32_e32 v27, vcc, v12, v27, vcc
	v_mul_f64 v[16:17], v[106:107], v[2:3]
	v_mul_f64 v[2:3], v[108:109], v[40:41]
	global_load_dwordx2 v[26:27], v[26:27], off
	s_nop 0
	global_load_dwordx2 v[40:41], v[8:9], off
	s_nop 0
	global_load_dwordx2 v[14:15], v[14:15], off
	v_add_f64 v[28:29], v[122:123], -v[120:121]
	v_mul_f64 v[8:9], v[28:29], s[0:1]
	v_mul_f64 v[20:21], v[110:111], v[20:21]
	s_waitcnt vmcnt(2)
	v_mul_f64 v[26:27], v[46:47], v[26:27]
	s_waitcnt vmcnt(0)
	v_add_f64 v[28:29], v[40:41], -v[14:15]
	v_mul_f64 v[26:27], v[50:51], v[26:27]
	v_fmac_f64_e32 v[8:9], s[4:5], v[28:29]
	v_fmac_f64_e32 v[2:3], v[8:9], v[26:27]
	v_lshlrev_b64 v[26:27], 3, v[38:39]
	v_add_co_u32_e32 v26, vcc, s16, v26
	v_mul_f64 v[28:29], v[90:91], v[94:95]
	v_addc_co_u32_e32 v27, vcc, v30, v27, vcc
	global_load_dwordx2 v[26:27], v[26:27], off
	v_mul_f64 v[78:79], v[28:29], v[60:61]
	v_add_f64 v[28:29], v[6:7], -v[70:71]
	v_lshlrev_b64 v[6:7], 3, v[24:25]
	v_add_co_u32_e32 v6, vcc, s16, v6
	v_addc_co_u32_e32 v7, vcc, v30, v7, vcc
	global_load_dwordx2 v[6:7], v[6:7], off
	v_fma_f64 v[8:9], v[110:111], v[124:125], 0
	v_fmac_f64_e32 v[8:9], v[80:81], v[92:93]
	v_fmac_f64_e32 v[8:9], v[110:111], v[32:33]
	v_mul_f64 v[24:25], v[28:29], s[0:1]
	s_waitcnt vmcnt(1)
	v_add_f64 v[32:33], v[40:41], -v[26:27]
	v_fmac_f64_e32 v[4:5], s[4:5], v[32:33]
	v_mul_f64 v[4:5], v[78:79], v[4:5]
	v_fmac_f64_e32 v[20:21], v[110:111], v[4:5]
	v_mul_f64 v[4:5], v[84:85], v[86:87]
	v_mul_f64 v[100:101], v[4:5], v[62:63]
	s_waitcnt vmcnt(0)
	v_add_f64 v[14:15], v[14:15], -v[6:7]
	v_fmac_f64_e32 v[24:25], s[4:5], v[14:15]
	v_mul_f64 v[4:5], v[100:101], v[24:25]
	v_mul_f64 v[14:15], v[110:111], v[16:17]
	v_fmac_f64_e32 v[14:15], v[110:111], v[4:5]
	v_add_f64 v[4:5], v[20:21], -v[14:15]
	v_fmac_f64_e32 v[82:83], s[4:5], v[4:5]
	v_add_f64 v[4:5], v[10:11], -v[22:23]
	buffer_load_dword v10, off, s[36:39], 0 offset:168 ; 4-byte Folded Reload
	v_add_f64 v[16:17], v[118:119], -v[114:115]
	v_add_f64 v[6:7], v[26:27], -v[6:7]
	v_mul_f64 v[16:17], v[16:17], s[0:1]
	v_fmac_f64_e32 v[16:17], s[4:5], v[6:7]
	v_mul_f64 v[4:5], v[4:5], s[0:1]
	s_waitcnt vmcnt(0)
	v_add_u32_e32 v10, s9, v10
	v_ashrrev_i32_e32 v11, 31, v10
	v_lshlrev_b64 v[14:15], 3, v[10:11]
	v_subrev_u32_e32 v6, s8, v10
	v_add_co_u32_e32 v14, vcc, s22, v14
	v_ashrrev_i32_e32 v7, 31, v6
	v_addc_co_u32_e32 v15, vcc, v12, v15, vcc
	v_lshlrev_b64 v[6:7], 3, v[6:7]
	v_add_co_u32_e32 v6, vcc, s22, v6
	v_addc_co_u32_e32 v7, vcc, v12, v7, vcc
	global_load_dwordx2 v[10:11], v[14:15], off
	s_nop 0
	global_load_dwordx2 v[6:7], v[6:7], off
	s_nop 0
	buffer_load_dword v14, off, s[36:39], 0 offset:136 ; 4-byte Folded Reload
	buffer_load_dword v15, off, s[36:39], 0 offset:140 ; 4-byte Folded Reload
	s_waitcnt vmcnt(0)
	v_mul_f64 v[10:11], v[14:15], v[10:11]
	v_mul_f64 v[6:7], v[14:15], v[6:7]
	buffer_load_dword v14, off, s[36:39], 0 offset:128 ; 4-byte Folded Reload
	buffer_load_dword v15, off, s[36:39], 0 offset:132 ; 4-byte Folded Reload
	;; [unrolled: 1-line block ×5, first 2 shown]
	s_waitcnt vmcnt(3)
	v_mul_f64 v[10:11], v[14:15], v[10:11]
	v_mul_f64 v[6:7], v[14:15], v[6:7]
	v_add_f64 v[14:15], v[116:117], -v[112:113]
	v_mul_f64 v[14:15], v[14:15], s[0:1]
	v_fmac_f64_e32 v[14:15], s[4:5], v[0:1]
	v_mul_f64 v[0:1], v[14:15], v[6:7]
	v_mul_f64 v[0:1], v[54:55], v[0:1]
	v_fmac_f64_e32 v[0:1], v[16:17], v[10:11]
	v_add_f64 v[0:1], v[2:3], -v[0:1]
	v_fmac_f64_e32 v[4:5], s[4:5], v[0:1]
	s_waitcnt vmcnt(2)
	v_add3_u32 v0, v20, v13, s7
	v_ashrrev_i32_e32 v1, 31, v0
	v_lshlrev_b64 v[2:3], 3, v[0:1]
	v_add_co_u32_e32 v22, vcc, s16, v2
	s_waitcnt vmcnt(1)
	v_add3_u32 v2, v18, v13, s7
	v_addc_co_u32_e32 v23, vcc, v30, v3, vcc
	v_ashrrev_i32_e32 v3, 31, v2
	v_fmac_f64_e32 v[82:83], v[110:111], v[4:5]
	v_lshlrev_b64 v[4:5], 3, v[2:3]
	buffer_load_dword v3, off, s[36:39], 0 offset:108 ; 4-byte Folded Reload
	v_add_co_u32_e32 v10, vcc, s16, v4
	s_waitcnt vmcnt(1)
	v_add3_u32 v4, v19, v13, s7
	v_addc_co_u32_e32 v11, vcc, v30, v5, vcc
	v_ashrrev_i32_e32 v5, 31, v4
	v_lshlrev_b64 v[6:7], 3, v[4:5]
	v_add_co_u32_e32 v16, vcc, s16, v6
	v_addc_co_u32_e32 v17, vcc, v30, v7, vcc
	v_subrev_u32_e32 v0, s6, v0
	v_ashrrev_i32_e32 v1, 31, v0
	v_lshlrev_b64 v[0:1], 3, v[0:1]
	v_add3_u32 v26, v19, v56, s7
	v_ashrrev_i32_e32 v27, 31, v26
	v_mov_b32_e32 v40, v18
	v_mov_b32_e32 v41, v19
	;; [unrolled: 1-line block ×3, first 2 shown]
	s_waitcnt vmcnt(0)
	v_add3_u32 v14, v3, v13, s7
	v_ashrrev_i32_e32 v15, 31, v14
	v_lshlrev_b64 v[6:7], 3, v[14:15]
	v_add_co_u32_e32 v38, vcc, s16, v6
	v_addc_co_u32_e32 v39, vcc, v30, v7, vcc
	v_add_co_u32_e32 v24, vcc, s16, v0
	v_subrev_u32_e32 v0, s6, v2
	v_addc_co_u32_e32 v25, vcc, v30, v1, vcc
	v_ashrrev_i32_e32 v1, 31, v0
	v_lshlrev_b64 v[0:1], 3, v[0:1]
	v_add_co_u32_e32 v6, vcc, s16, v0
	v_subrev_u32_e32 v0, s6, v4
	v_addc_co_u32_e32 v7, vcc, v30, v1, vcc
	v_ashrrev_i32_e32 v1, 31, v0
	v_lshlrev_b64 v[0:1], 3, v[0:1]
	;; [unrolled: 5-line block ×3, first 2 shown]
	v_add3_u32 v4, v20, v56, s7
	v_add_co_u32_e32 v54, vcc, s16, v0
	v_ashrrev_i32_e32 v5, 31, v4
	v_addc_co_u32_e32 v55, vcc, v30, v1, vcc
	v_lshlrev_b64 v[0:1], 3, v[4:5]
	v_add3_u32 v14, v18, v56, s7
	v_add_co_u32_e32 v70, vcc, s16, v0
	v_ashrrev_i32_e32 v15, 31, v14
	v_addc_co_u32_e32 v71, vcc, v30, v1, vcc
	v_lshlrev_b64 v[0:1], 3, v[14:15]
	v_add_co_u32_e32 v72, vcc, s16, v0
	v_addc_co_u32_e32 v73, vcc, v30, v1, vcc
	v_lshlrev_b64 v[0:1], 3, v[26:27]
	v_add3_u32 v28, v3, v56, s7
	v_add_co_u32_e32 v0, vcc, s16, v0
	v_ashrrev_i32_e32 v29, 31, v28
	v_addc_co_u32_e32 v1, vcc, v30, v1, vcc
	v_mov_b32_e32 v13, v3
	v_lshlrev_b64 v[2:3], 3, v[28:29]
	v_subrev_u32_e32 v4, s6, v4
	v_add_co_u32_e32 v2, vcc, s16, v2
	v_ashrrev_i32_e32 v5, 31, v4
	v_addc_co_u32_e32 v3, vcc, v30, v3, vcc
	v_lshlrev_b64 v[4:5], 3, v[4:5]
	v_add_co_u32_e32 v18, vcc, s16, v4
	v_subrev_u32_e32 v4, s6, v14
	v_addc_co_u32_e32 v19, vcc, v30, v5, vcc
	v_ashrrev_i32_e32 v5, 31, v4
	v_lshlrev_b64 v[4:5], 3, v[4:5]
	v_add_co_u32_e32 v20, vcc, s16, v4
	v_subrev_u32_e32 v4, s6, v26
	v_addc_co_u32_e32 v21, vcc, v30, v5, vcc
	v_ashrrev_i32_e32 v5, 31, v4
	;; [unrolled: 5-line block ×3, first 2 shown]
	v_lshlrev_b64 v[4:5], 3, v[4:5]
	v_add_co_u32_e32 v84, vcc, s16, v4
	v_add3_u32 v4, v46, v31, s7
	v_addc_co_u32_e32 v85, vcc, v30, v5, vcc
	v_ashrrev_i32_e32 v5, 31, v4
	v_lshlrev_b64 v[14:15], 3, v[4:5]
	v_add_co_u32_e32 v86, vcc, s16, v14
	v_add3_u32 v14, v40, v31, s7
	v_addc_co_u32_e32 v87, vcc, v30, v15, vcc
	v_ashrrev_i32_e32 v15, 31, v14
	;; [unrolled: 5-line block ×4, first 2 shown]
	v_lshlrev_b64 v[32:33], 3, v[28:29]
	v_subrev_u32_e32 v4, s6, v4
	v_add_co_u32_e32 v32, vcc, s16, v32
	v_ashrrev_i32_e32 v5, 31, v4
	v_addc_co_u32_e32 v33, vcc, v30, v33, vcc
	v_lshlrev_b64 v[4:5], 3, v[4:5]
	v_add_co_u32_e32 v34, vcc, s16, v4
	v_subrev_u32_e32 v4, s6, v14
	v_addc_co_u32_e32 v35, vcc, v30, v5, vcc
	v_ashrrev_i32_e32 v5, 31, v4
	v_lshlrev_b64 v[4:5], 3, v[4:5]
	v_add_co_u32_e32 v98, vcc, s16, v4
	v_subrev_u32_e32 v4, s6, v26
	v_addc_co_u32_e32 v99, vcc, v30, v5, vcc
	v_ashrrev_i32_e32 v5, 31, v4
	;; [unrolled: 5-line block ×3, first 2 shown]
	v_lshlrev_b64 v[4:5], 3, v[4:5]
	v_add_co_u32_e32 v106, vcc, s16, v4
	v_add3_u32 v4, v46, v57, s7
	v_addc_co_u32_e32 v107, vcc, v30, v5, vcc
	v_ashrrev_i32_e32 v5, 31, v4
	v_lshlrev_b64 v[14:15], 3, v[4:5]
	v_add_co_u32_e32 v108, vcc, s16, v14
	v_add3_u32 v14, v40, v57, s7
	v_addc_co_u32_e32 v109, vcc, v30, v15, vcc
	v_ashrrev_i32_e32 v15, 31, v14
	;; [unrolled: 5-line block ×4, first 2 shown]
	v_lshlrev_b64 v[40:41], 3, v[28:29]
	v_subrev_u32_e32 v4, s6, v4
	v_add_co_u32_e32 v114, vcc, s16, v40
	v_ashrrev_i32_e32 v5, 31, v4
	v_addc_co_u32_e32 v115, vcc, v30, v41, vcc
	v_lshlrev_b64 v[4:5], 3, v[4:5]
	v_add_co_u32_e32 v116, vcc, s16, v4
	v_subrev_u32_e32 v4, s6, v14
	v_addc_co_u32_e32 v117, vcc, v30, v5, vcc
	v_ashrrev_i32_e32 v5, 31, v4
	v_lshlrev_b64 v[4:5], 3, v[4:5]
	v_add_co_u32_e32 v118, vcc, s16, v4
	v_subrev_u32_e32 v4, s6, v26
	v_addc_co_u32_e32 v119, vcc, v30, v5, vcc
	v_ashrrev_i32_e32 v5, 31, v4
	;; [unrolled: 5-line block ×3, first 2 shown]
	v_lshlrev_b64 v[4:5], 3, v[4:5]
	v_add_co_u32_e32 v122, vcc, s16, v4
	v_addc_co_u32_e32 v123, vcc, v30, v5, vcc
	buffer_load_dword v4, off, s[36:39], 0 offset:172 ; 4-byte Folded Reload
	buffer_load_dword v5, off, s[36:39], 0 offset:176 ; 4-byte Folded Reload
	s_waitcnt vmcnt(1)
	v_add_co_u32_e32 v124, vcc, s22, v4
	buffer_load_dword v4, off, s[36:39], 0 offset:104 ; 4-byte Folded Reload
	s_waitcnt vmcnt(1)
	v_addc_co_u32_e32 v125, vcc, v12, v5, vcc
	s_waitcnt vmcnt(0)
	v_add_u32_e32 v4, s9, v4
	v_ashrrev_i32_e32 v5, 31, v4
	v_lshlrev_b64 v[4:5], 3, v[4:5]
	v_add_co_u32_e32 v126, vcc, s22, v4
	v_addc_co_u32_e32 v127, vcc, v12, v5, vcc
	buffer_load_dword v4, off, s[36:39], 0 offset:160 ; 4-byte Folded Reload
	buffer_load_dword v5, off, s[36:39], 0 offset:164 ; 4-byte Folded Reload
	buffer_load_dword v13, off, s[36:39], 0 offset:156 ; 4-byte Folded Reload
	s_waitcnt vmcnt(2)
	v_add_co_u32_e32 v4, vcc, s22, v4
	s_waitcnt vmcnt(0)
	v_add_u32_e32 v14, s9, v13
	v_ashrrev_i32_e32 v15, 31, v14
	v_addc_co_u32_e32 v5, vcc, v12, v5, vcc
	v_lshlrev_b64 v[14:15], 3, v[14:15]
	v_add_co_u32_e32 v40, vcc, s22, v14
	v_addc_co_u32_e32 v41, vcc, v12, v15, vcc
	buffer_load_dword v14, off, s[36:39], 0 offset:148 ; 4-byte Folded Reload
	buffer_load_dword v15, off, s[36:39], 0 offset:152 ; 4-byte Folded Reload
	;; [unrolled: 1-line block ×3, first 2 shown]
	s_waitcnt vmcnt(2)
	v_add_co_u32_e32 v30, vcc, s22, v14
	s_waitcnt vmcnt(0)
	v_add_u32_e32 v14, s9, v13
	v_addc_co_u32_e32 v31, vcc, v12, v15, vcc
	v_ashrrev_i32_e32 v15, 31, v14
	v_lshlrev_b64 v[14:15], 3, v[14:15]
	v_add_co_u32_e32 v26, vcc, s22, v14
	v_addc_co_u32_e32 v27, vcc, v12, v15, vcc
	buffer_load_dword v14, off, s[36:39], 0 offset:116 ; 4-byte Folded Reload
	buffer_load_dword v15, off, s[36:39], 0 offset:120 ; 4-byte Folded Reload
	;; [unrolled: 1-line block ×3, first 2 shown]
	s_waitcnt vmcnt(2)
	v_add_co_u32_e32 v28, vcc, s22, v14
	s_waitcnt vmcnt(0)
	v_add_u32_e32 v14, s9, v13
	v_addc_co_u32_e32 v29, vcc, v12, v15, vcc
	v_ashrrev_i32_e32 v15, 31, v14
	v_lshlrev_b64 v[14:15], 3, v[14:15]
	v_add_co_u32_e32 v14, vcc, s22, v14
	v_addc_co_u32_e32 v15, vcc, v12, v15, vcc
	buffer_load_dword v12, off, s[36:39], 0 offset:256 ; 4-byte Folded Reload
	buffer_load_dword v13, off, s[36:39], 0 offset:260 ; 4-byte Folded Reload
	s_waitcnt vmcnt(0)
	v_fmac_f64_e32 v[8:9], v[80:81], v[12:13]
	v_mul_f64 v[12:13], v[64:65], v[36:37]
	v_mul_f64 v[12:13], v[12:13], v[96:97]
	global_load_dwordx2 v[36:37], v[22:23], off
	s_nop 0
	global_load_dwordx2 v[22:23], v[10:11], off
	s_nop 0
	global_load_dwordx2 v[10:11], v[16:17], off
	global_load_dwordx2 v[96:97], v[38:39], off
	s_waitcnt vmcnt(2)
	v_add_f64 v[16:17], v[36:37], -v[22:23]
	v_mul_f64 v[16:17], v[16:17], s[0:1]
	s_waitcnt vmcnt(0)
	v_add_f64 v[38:39], v[10:11], -v[96:97]
	v_fmac_f64_e32 v[16:17], s[4:5], v[38:39]
	v_mul_f64 v[12:13], v[12:13], v[16:17]
	global_load_dwordx2 v[46:47], v[24:25], off
	global_load_dwordx2 v[38:39], v[6:7], off
	;; [unrolled: 1-line block ×3, first 2 shown]
	s_nop 0
	global_load_dwordx2 v[6:7], v[54:55], off
	v_mul_f64 v[12:13], v[42:43], v[12:13]
	s_waitcnt vmcnt(2)
	v_add_f64 v[24:25], v[46:47], -v[38:39]
	v_mul_f64 v[24:25], v[24:25], s[0:1]
	s_waitcnt vmcnt(0)
	v_add_f64 v[50:51], v[16:17], -v[6:7]
	v_fmac_f64_e32 v[24:25], s[4:5], v[50:51]
	buffer_load_dword v50, off, s[36:39], 0 offset:264 ; 4-byte Folded Reload
	buffer_load_dword v51, off, s[36:39], 0 offset:268 ; 4-byte Folded Reload
	s_waitcnt vmcnt(0)
	v_mul_f64 v[24:25], v[50:51], v[24:25]
	v_mul_f64 v[24:25], v[80:81], v[24:25]
	v_fmac_f64_e32 v[24:25], v[80:81], v[12:13]
	v_mul_f64 v[12:13], v[48:49], v[68:69]
	v_mul_f64 v[12:13], v[12:13], v[102:103]
	global_load_dwordx2 v[92:93], v[70:71], off
	global_load_dwordx2 v[50:51], v[72:73], off
	;; [unrolled: 1-line block ×3, first 2 shown]
	s_nop 0
	global_load_dwordx2 v[0:1], v[2:3], off
	s_waitcnt vmcnt(2)
	v_add_f64 v[2:3], v[92:93], -v[50:51]
	v_mul_f64 v[2:3], v[2:3], s[0:1]
	s_waitcnt vmcnt(0)
	v_add_f64 v[48:49], v[102:103], -v[0:1]
	v_fmac_f64_e32 v[2:3], s[4:5], v[48:49]
	v_mul_f64 v[12:13], v[12:13], v[2:3]
	global_load_dwordx2 v[54:55], v[18:19], off
	global_load_dwordx2 v[52:53], v[20:21], off
	s_nop 0
	global_load_dwordx2 v[18:19], v[74:75], off
	global_load_dwordx2 v[2:3], v[84:85], off
	v_mul_f64 v[12:13], v[42:43], v[12:13]
	v_add_f64 v[22:23], v[22:23], -v[50:51]
	v_mul_f64 v[22:23], v[22:23], s[0:1]
	v_add_f64 v[10:11], v[10:11], -v[102:103]
	;; [unrolled: 2-line block ×3, first 2 shown]
	v_mul_f64 v[0:1], v[0:1], s[0:1]
	s_waitcnt vmcnt(2)
	v_add_f64 v[20:21], v[54:55], -v[52:53]
	v_mul_f64 v[20:21], v[20:21], s[0:1]
	s_waitcnt vmcnt(0)
	v_add_f64 v[48:49], v[18:19], -v[2:3]
	v_fmac_f64_e32 v[20:21], s[4:5], v[48:49]
	buffer_load_dword v48, off, s[36:39], 0 offset:272 ; 4-byte Folded Reload
	buffer_load_dword v49, off, s[36:39], 0 offset:276 ; 4-byte Folded Reload
	v_add_f64 v[16:17], v[16:17], -v[18:19]
	v_mul_f64 v[16:17], v[16:17], s[0:1]
	v_add_f64 v[2:3], v[6:7], -v[2:3]
	v_mul_f64 v[2:3], v[2:3], s[0:1]
	s_waitcnt vmcnt(0)
	v_mul_f64 v[20:21], v[48:49], v[20:21]
	v_mul_f64 v[20:21], v[80:81], v[20:21]
	v_fmac_f64_e32 v[20:21], v[80:81], v[12:13]
	v_add_f64 v[12:13], v[24:25], -v[20:21]
	v_fmac_f64_e32 v[82:83], s[0:1], v[12:13]
	v_mul_f64 v[12:13], v[58:59], v[76:77]
	global_load_dwordx2 v[68:69], v[86:87], off
	global_load_dwordx2 v[58:59], v[90:91], off
	;; [unrolled: 1-line block ×4, first 2 shown]
	v_mul_f64 v[12:13], v[12:13], v[60:61]
	v_add_f64 v[94:95], v[36:37], -v[92:93]
	s_waitcnt vmcnt(2)
	v_add_f64 v[32:33], v[68:69], -v[58:59]
	v_mul_f64 v[32:33], v[32:33], s[0:1]
	s_waitcnt vmcnt(0)
	v_add_f64 v[48:49], v[24:25], -v[20:21]
	v_fmac_f64_e32 v[32:33], s[4:5], v[48:49]
	v_mul_f64 v[12:13], v[12:13], v[32:33]
	global_load_dwordx2 v[70:71], v[34:35], off
	global_load_dwordx2 v[60:61], v[98:99], off
	s_nop 0
	global_load_dwordx2 v[34:35], v[104:105], off
	global_load_dwordx2 v[32:33], v[106:107], off
	v_mul_f64 v[12:13], v[42:43], v[12:13]
	s_waitcnt vmcnt(2)
	v_add_f64 v[48:49], v[70:71], -v[60:61]
	v_mul_f64 v[48:49], v[48:49], s[0:1]
	s_waitcnt vmcnt(0)
	v_add_f64 v[56:57], v[34:35], -v[32:33]
	v_fmac_f64_e32 v[48:49], s[4:5], v[56:57]
	v_mul_f64 v[48:49], v[78:79], v[48:49]
	v_mul_f64 v[74:75], v[80:81], v[48:49]
	v_fmac_f64_e32 v[74:75], v[80:81], v[12:13]
	v_mul_f64 v[12:13], v[88:89], v[66:67]
	v_mul_f64 v[12:13], v[12:13], v[62:63]
	global_load_dwordx2 v[78:79], v[108:109], off
	global_load_dwordx2 v[66:67], v[110:111], off
	;; [unrolled: 1-line block ×4, first 2 shown]
	s_waitcnt vmcnt(3)
	v_add_f64 v[36:37], v[68:69], -v[78:79]
	s_waitcnt vmcnt(2)
	v_add_f64 v[56:57], v[78:79], -v[66:67]
	v_mul_f64 v[56:57], v[56:57], s[0:1]
	s_waitcnt vmcnt(0)
	v_add_f64 v[64:65], v[62:63], -v[48:49]
	v_fmac_f64_e32 v[56:57], s[4:5], v[64:65]
	v_mul_f64 v[12:13], v[12:13], v[56:57]
	global_load_dwordx2 v[84:85], v[116:117], off
	global_load_dwordx2 v[72:73], v[118:119], off
	;; [unrolled: 1-line block ×4, first 2 shown]
	v_mul_f64 v[12:13], v[42:43], v[12:13]
	v_add_f64 v[24:25], v[24:25], -v[62:63]
	v_fmac_f64_e32 v[10:11], s[4:5], v[24:25]
	s_waitcnt vmcnt(2)
	v_add_f64 v[76:77], v[84:85], -v[72:73]
	v_mul_f64 v[76:77], v[76:77], s[0:1]
	s_waitcnt vmcnt(0)
	v_add_f64 v[86:87], v[64:65], -v[56:57]
	v_fmac_f64_e32 v[76:77], s[4:5], v[86:87]
	v_mul_f64 v[76:77], v[100:101], v[76:77]
	v_mul_f64 v[42:43], v[80:81], v[76:77]
	v_fmac_f64_e32 v[42:43], v[80:81], v[12:13]
	v_add_f64 v[12:13], v[74:75], -v[42:43]
	global_load_dwordx2 v[42:43], v[124:125], off
	global_load_dwordx2 v[90:91], v[126:127], off
	;; [unrolled: 1-line block ×6, first 2 shown]
	s_nop 0
	global_load_dwordx2 v[26:27], v[28:29], off
	s_nop 0
	global_load_dwordx2 v[14:15], v[14:15], off
	s_nop 0
	buffer_load_dword v4, off, s[36:39], 0 offset:200 ; 4-byte Folded Reload
	buffer_load_dword v5, off, s[36:39], 0 offset:204 ; 4-byte Folded Reload
	v_fmac_f64_e32 v[82:83], s[4:5], v[12:13]
	v_mul_f64 v[30:31], v[94:95], s[0:1]
	v_fmac_f64_e32 v[30:31], s[4:5], v[36:37]
	v_add_f64 v[36:37], v[46:47], -v[54:55]
	v_mul_f64 v[36:37], v[36:37], s[0:1]
	v_add_f64 v[18:19], v[34:35], -v[64:65]
	v_fmac_f64_e32 v[16:17], s[4:5], v[18:19]
	v_add_f64 v[18:19], v[20:21], -v[48:49]
	v_fmac_f64_e32 v[0:1], s[4:5], v[18:19]
	;; [unrolled: 2-line block ×3, first 2 shown]
	s_waitcnt vmcnt(1)
	v_add_co_u32_e32 v12, vcc, s2, v4
	v_mov_b32_e32 v4, s3
	s_waitcnt vmcnt(0)
	v_addc_co_u32_e32 v13, vcc, v4, v5, vcc
	global_load_dwordx2 v[4:5], v[12:13], off
	buffer_load_dword v40, off, s[36:39], 0 offset:96 ; 4-byte Folded Reload
	buffer_load_dword v41, off, s[36:39], 0 offset:100 ; 4-byte Folded Reload
	s_waitcnt vmcnt(0)
	v_mul_f64 v[28:29], v[40:41], v[42:43]
	buffer_load_dword v42, off, s[36:39], 0 offset:88 ; 4-byte Folded Reload
	buffer_load_dword v43, off, s[36:39], 0 offset:92 ; 4-byte Folded Reload
	s_waitcnt vmcnt(0)
	v_mul_f64 v[28:29], v[42:43], v[28:29]
	v_mul_f64 v[28:29], v[30:31], v[28:29]
	;; [unrolled: 1-line block ×3, first 2 shown]
	v_add_f64 v[40:41], v[70:71], -v[84:85]
	v_mul_f64 v[30:31], v[42:43], v[30:31]
	v_fmac_f64_e32 v[36:37], s[4:5], v[40:41]
	v_mul_f64 v[30:31], v[36:37], v[30:31]
	buffer_load_dword v36, off, s[36:39], 0 offset:80 ; 4-byte Folded Reload
	buffer_load_dword v37, off, s[36:39], 0 offset:84 ; 4-byte Folded Reload
	;; [unrolled: 1-line block ×6, first 2 shown]
	s_waitcnt vmcnt(4)
	v_fmac_f64_e32 v[30:31], v[36:37], v[28:29]
	s_waitcnt vmcnt(2)
	v_mul_f64 v[28:29], v[40:41], v[88:89]
	v_add_f64 v[36:37], v[58:59], -v[66:67]
	s_waitcnt vmcnt(0)
	v_mul_f64 v[28:29], v[42:43], v[28:29]
	v_fmac_f64_e32 v[22:23], s[4:5], v[36:37]
	v_add_f64 v[36:37], v[38:39], -v[52:53]
	v_mul_f64 v[22:23], v[22:23], v[28:29]
	v_mul_f64 v[28:29], v[40:41], v[86:87]
	;; [unrolled: 1-line block ×3, first 2 shown]
	v_add_f64 v[38:39], v[60:61], -v[72:73]
	v_mul_f64 v[28:29], v[42:43], v[28:29]
	v_fmac_f64_e32 v[36:37], s[4:5], v[38:39]
	v_mul_f64 v[28:29], v[36:37], v[28:29]
	buffer_load_dword v36, off, s[36:39], 0 offset:64 ; 4-byte Folded Reload
	buffer_load_dword v37, off, s[36:39], 0 offset:68 ; 4-byte Folded Reload
	;; [unrolled: 1-line block ×4, first 2 shown]
	s_waitcnt vmcnt(2)
	v_fmac_f64_e32 v[28:29], v[36:37], v[22:23]
	v_add_f64 v[22:23], v[30:31], -v[28:29]
	buffer_load_dword v30, off, s[36:39], 0 offset:28 ; 4-byte Folded Reload
	buffer_load_dword v31, off, s[36:39], 0 offset:32 ; 4-byte Folded Reload
	;; [unrolled: 1-line block ×4, first 2 shown]
	v_mul_f64 v[22:23], v[22:23], s[0:1]
	s_waitcnt vmcnt(2)
	v_mul_f64 v[24:25], v[30:31], v[74:75]
	s_waitcnt vmcnt(0)
	v_mul_f64 v[24:25], v[36:37], v[24:25]
	v_mul_f64 v[16:17], v[16:17], v[24:25]
	buffer_load_dword v24, off, s[36:39], 0 offset:12 ; 4-byte Folded Reload
	buffer_load_dword v25, off, s[36:39], 0 offset:16 ; 4-byte Folded Reload
	v_mul_f64 v[28:29], v[30:31], v[76:77]
	v_mul_f64 v[28:29], v[36:37], v[28:29]
	;; [unrolled: 1-line block ×3, first 2 shown]
	v_fmac_f64_e32 v[16:17], v[44:45], v[10:11]
	s_waitcnt vmcnt(0)
	v_mul_f64 v[10:11], v[24:25], v[26:27]
	buffer_load_dword v26, off, s[36:39], 0 offset:20 ; 4-byte Folded Reload
	buffer_load_dword v27, off, s[36:39], 0 offset:24 ; 4-byte Folded Reload
	s_waitcnt vmcnt(0)
	v_mul_f64 v[10:11], v[26:27], v[10:11]
	v_mul_f64 v[0:1], v[0:1], v[10:11]
	;; [unrolled: 1-line block ×5, first 2 shown]
	v_fmac_f64_e32 v[2:3], v[38:39], v[0:1]
	v_add_f64 v[0:1], v[16:17], -v[2:3]
	buffer_load_dword v2, off, s[36:39], 0  ; 4-byte Folded Reload
	buffer_load_dword v3, off, s[36:39], 0 offset:4 ; 4-byte Folded Reload
	v_fmac_f64_e32 v[22:23], s[4:5], v[0:1]
	v_fmac_f64_e32 v[82:83], v[80:81], v[22:23]
	v_add_f64 v[0:1], v[8:9], v[82:83]
	v_mul_f64 v[0:1], v[0:1], s[14:15]
	s_waitcnt vmcnt(0)
	v_mul_f64 v[0:1], v[2:3], v[0:1]
	v_fmac_f64_e32 v[0:1], s[12:13], v[4:5]
	global_store_dwordx2 v[12:13], v[0:1], off
.LBB3_2:
	s_endpgm
	.section	.rodata,"a",@progbits
	.p2align	6, 0x0
	.amdhsa_kernel _Z7kernel4iiiiiiiiiiiiddPKdS0_S0_S0_S0_PdS0_S0_S0_S0_S0_S0_S0_
		.amdhsa_group_segment_fixed_size 0
		.amdhsa_private_segment_fixed_size 284
		.amdhsa_kernarg_size 424
		.amdhsa_user_sgpr_count 6
		.amdhsa_user_sgpr_private_segment_buffer 1
		.amdhsa_user_sgpr_dispatch_ptr 0
		.amdhsa_user_sgpr_queue_ptr 0
		.amdhsa_user_sgpr_kernarg_segment_ptr 1
		.amdhsa_user_sgpr_dispatch_id 0
		.amdhsa_user_sgpr_flat_scratch_init 0
		.amdhsa_user_sgpr_kernarg_preload_length 0
		.amdhsa_user_sgpr_kernarg_preload_offset 0
		.amdhsa_user_sgpr_private_segment_size 0
		.amdhsa_uses_dynamic_stack 0
		.amdhsa_system_sgpr_private_segment_wavefront_offset 1
		.amdhsa_system_sgpr_workgroup_id_x 1
		.amdhsa_system_sgpr_workgroup_id_y 1
		.amdhsa_system_sgpr_workgroup_id_z 1
		.amdhsa_system_sgpr_workgroup_info 0
		.amdhsa_system_vgpr_workitem_id 2
		.amdhsa_next_free_vgpr 128
		.amdhsa_next_free_sgpr 40
		.amdhsa_accum_offset 128
		.amdhsa_reserve_vcc 1
		.amdhsa_reserve_flat_scratch 0
		.amdhsa_float_round_mode_32 0
		.amdhsa_float_round_mode_16_64 0
		.amdhsa_float_denorm_mode_32 3
		.amdhsa_float_denorm_mode_16_64 3
		.amdhsa_dx10_clamp 1
		.amdhsa_ieee_mode 1
		.amdhsa_fp16_overflow 0
		.amdhsa_tg_split 0
		.amdhsa_exception_fp_ieee_invalid_op 0
		.amdhsa_exception_fp_denorm_src 0
		.amdhsa_exception_fp_ieee_div_zero 0
		.amdhsa_exception_fp_ieee_overflow 0
		.amdhsa_exception_fp_ieee_underflow 0
		.amdhsa_exception_fp_ieee_inexact 0
		.amdhsa_exception_int_div_zero 0
	.end_amdhsa_kernel
	.text
.Lfunc_end3:
	.size	_Z7kernel4iiiiiiiiiiiiddPKdS0_S0_S0_S0_PdS0_S0_S0_S0_S0_S0_S0_, .Lfunc_end3-_Z7kernel4iiiiiiiiiiiiddPKdS0_S0_S0_S0_PdS0_S0_S0_S0_S0_S0_S0_
                                        ; -- End function
	.section	.AMDGPU.csdata,"",@progbits
; Kernel info:
; codeLenInByte = 10780
; NumSgprs: 44
; NumVgprs: 128
; NumAgprs: 0
; TotalNumVgprs: 128
; ScratchSize: 284
; MemoryBound: 0
; FloatMode: 240
; IeeeMode: 1
; LDSByteSize: 0 bytes/workgroup (compile time only)
; SGPRBlocks: 5
; VGPRBlocks: 15
; NumSGPRsForWavesPerEU: 44
; NumVGPRsForWavesPerEU: 128
; AccumOffset: 128
; Occupancy: 4
; WaveLimiterHint : 0
; COMPUTE_PGM_RSRC2:SCRATCH_EN: 1
; COMPUTE_PGM_RSRC2:USER_SGPR: 6
; COMPUTE_PGM_RSRC2:TRAP_HANDLER: 0
; COMPUTE_PGM_RSRC2:TGID_X_EN: 1
; COMPUTE_PGM_RSRC2:TGID_Y_EN: 1
; COMPUTE_PGM_RSRC2:TGID_Z_EN: 1
; COMPUTE_PGM_RSRC2:TIDIG_COMP_CNT: 2
; COMPUTE_PGM_RSRC3_GFX90A:ACCUM_OFFSET: 31
; COMPUTE_PGM_RSRC3_GFX90A:TG_SPLIT: 0
	.text
	.protected	_Z7kernel5iiiiiiiiiiiiiddPKdS0_S0_S0_S0_PdS0_S0_S0_S0_S0_S0_S0_ ; -- Begin function _Z7kernel5iiiiiiiiiiiiiddPKdS0_S0_S0_S0_PdS0_S0_S0_S0_S0_S0_S0_
	.globl	_Z7kernel5iiiiiiiiiiiiiddPKdS0_S0_S0_S0_PdS0_S0_S0_S0_S0_S0_S0_
	.p2align	8
	.type	_Z7kernel5iiiiiiiiiiiiiddPKdS0_S0_S0_S0_PdS0_S0_S0_S0_S0_S0_S0_,@function
_Z7kernel5iiiiiiiiiiiiiddPKdS0_S0_S0_S0_PdS0_S0_S0_S0_S0_S0_S0_: ; @_Z7kernel5iiiiiiiiiiiiiddPKdS0_S0_S0_S0_PdS0_S0_S0_S0_S0_S0_S0_
; %bb.0:
	s_mov_b64 s[46:47], s[2:3]
	s_mov_b64 s[44:45], s[0:1]
	s_load_dwordx8 s[16:23], s[4:5], 0x0
	s_load_dwordx2 s[0:1], s[4:5], 0xbc
	s_add_u32 s44, s44, s9
	s_addc_u32 s45, s45, 0
	v_and_b32_e32 v2, 0x3ff, v0
	v_bfe_u32 v1, v0, 10, 10
	s_waitcnt lgkmcnt(0)
	s_and_b32 s1, s1, 0xffff
	s_lshr_b32 s2, s0, 16
	s_and_b32 s0, s0, 0xffff
	v_add_u32_e32 v67, s16, v2
	s_mul_i32 s33, s6, s0
	v_add_u32_e32 v69, s18, v1
	s_mul_i32 s40, s7, s2
	s_mul_i32 s0, s8, s1
	v_add_u32_e32 v8, s33, v67
	v_add_u32_e32 v17, s40, v69
	s_add_i32 s0, s0, s20
	v_bfe_u32 v0, v0, 20, 10
	v_add_u32_e32 v68, s0, v0
	v_cmp_gt_i32_e32 vcc, s17, v8
	v_cmp_gt_i32_e64 s[0:1], s19, v17
	s_and_b64 s[0:1], vcc, s[0:1]
	v_cmp_gt_i32_e32 vcc, s21, v68
	s_and_b64 s[0:1], s[0:1], vcc
	s_and_saveexec_b64 s[2:3], s[0:1]
	s_cbranch_execz .LBB4_13
; %bb.1:
	buffer_store_dword v2, off, s[44:47], 0 offset:740 ; 4-byte Folded Spill
	s_load_dwordx8 s[24:31], s[4:5], 0x90
	s_load_dwordx8 s[8:15], s[4:5], 0x48
	s_load_dwordx4 s[36:39], s[4:5], 0x20
	s_sub_i32 s18, s23, s22
	s_not_b32 s17, s18
	s_add_i32 s18, s18, 1
	v_subrev_u32_e32 v0, s22, v8
	s_waitcnt lgkmcnt(0)
	s_sub_i32 s37, s37, s36
	s_add_i32 s37, s37, 1
	s_mul_i32 s20, s37, s18
	s_mul_i32 s0, s20, s38
	;; [unrolled: 1-line block ×3, first 2 shown]
	s_add_i32 s0, s0, s22
	s_sub_i32 s0, s17, s0
	v_add_u32_e32 v9, s0, v8
	v_mul_lo_u32 v26, v17, s18
	v_ashrrev_i32_e32 v1, 31, v0
	v_add_u32_e32 v59, v26, v9
	v_mul_lo_u32 v10, v68, s20
	v_lshlrev_b64 v[0:1], 3, v[0:1]
	v_subrev_u32_e32 v4, s36, v17
	v_add_u32_e32 v12, v59, v10
	v_add_co_u32_e32 v18, vcc, s28, v0
	v_mov_b32_e32 v0, s29
	v_ashrrev_i32_e32 v5, 31, v4
	v_ashrrev_i32_e32 v13, 31, v12
	v_add_u32_e32 v11, -2, v8
	v_add3_u32 v29, v10, v26, s0
	v_addc_co_u32_e32 v19, vcc, v0, v1, vcc
	v_lshlrev_b64 v[4:5], 3, v[4:5]
	v_lshlrev_b64 v[24:25], 3, v[12:13]
	v_add_u32_e32 v12, v29, v11
	v_add_co_u32_e32 v34, vcc, s30, v4
	v_mov_b32_e32 v4, s31
	v_ashrrev_i32_e32 v13, 31, v12
	v_addc_co_u32_e32 v35, vcc, v4, v5, vcc
	v_lshlrev_b64 v[12:13], 3, v[12:13]
	s_sub_i32 s1, s39, s38
	global_load_dwordx4 v[0:3], v[18:19], off
	global_load_dwordx4 v[120:123], v[18:19], off offset:-16
	v_add_co_u32_e32 v14, vcc, s10, v12
	buffer_store_dword v11, off, s[44:47], 0 offset:72 ; 4-byte Folded Spill
	v_mov_b32_e32 v11, s11
	s_add_i32 s1, s1, 1
	v_addc_co_u32_e32 v15, vcc, v11, v13, vcc
	s_mul_i32 s19, s1, s20
	v_add_co_u32_e32 v12, vcc, s12, v12
	v_mov_b32_e32 v16, s13
	s_sub_i32 s36, s0, s19
	v_addc_co_u32_e32 v13, vcc, v16, v13, vcc
	s_ashr_i32 s0, s36, 31
	global_load_dwordx2 v[126:127], v[14:15], off
	v_ashrrev_i32_e32 v14, 31, v8
	v_add_co_u32_e32 v15, vcc, s36, v8
	v_mov_b32_e32 v20, s0
	v_addc_co_u32_e32 v14, vcc, v14, v20, vcc
	global_load_dwordx2 v[52:53], v[12:13], off
	v_ashrrev_i32_e32 v13, 31, v26
	v_add_co_u32_e32 v15, vcc, v15, v26
	v_addc_co_u32_e32 v13, vcc, v14, v13, vcc
	v_ashrrev_i32_e32 v12, 31, v10
	v_add_co_u32_e32 v14, vcc, v15, v10
	s_ashr_i32 s28, s19, 31
	v_addc_co_u32_e32 v13, vcc, v13, v12, vcc
	v_add_co_u32_e32 v12, vcc, s19, v14
	v_mov_b32_e32 v14, s28
	v_addc_co_u32_e32 v13, vcc, v13, v14, vcc
	v_lshlrev_b64 v[12:13], 3, v[12:13]
	v_add_co_u32_e32 v12, vcc, s14, v12
	v_mov_b32_e32 v82, s15
	v_addc_co_u32_e32 v13, vcc, v82, v13, vcc
	global_load_dwordx4 v[110:113], v[12:13], off offset:-16
	v_add_u32_e32 v12, -1, v8
	v_add_u32_e32 v20, v29, v12
	v_ashrrev_i32_e32 v21, 31, v20
	v_lshlrev_b64 v[20:21], 3, v[20:21]
	v_add_co_u32_e32 v22, vcc, s10, v20
	v_addc_co_u32_e32 v23, vcc, v11, v21, vcc
	v_add_co_u32_e32 v20, vcc, s12, v20
	v_addc_co_u32_e32 v21, vcc, v16, v21, vcc
	buffer_store_dword v12, off, s[44:47], 0 offset:80 ; 4-byte Folded Spill
	global_load_dwordx2 v[12:13], v[20:21], off
	v_add_co_u32_e32 v20, vcc, s10, v24
	v_addc_co_u32_e32 v21, vcc, v11, v25, vcc
	v_add_u32_e32 v31, s36, v8
	global_load_dwordx2 v[86:87], v[22:23], off
	global_load_dwordx2 v[38:39], v[20:21], off
	v_add_co_u32_e32 v20, vcc, s12, v24
	v_add_u32_e32 v30, v26, v31
	v_addc_co_u32_e32 v21, vcc, v16, v25, vcc
	v_add_u32_e32 v28, v30, v10
	global_load_dwordx2 v[22:23], v[20:21], off
	v_add_u32_e32 v20, s19, v28
	v_ashrrev_i32_e32 v21, 31, v20
	v_add_u32_e32 v14, 1, v8
	v_lshlrev_b64 v[40:41], 3, v[20:21]
	v_add_u32_e32 v26, v29, v14
	v_add_co_u32_e32 v20, vcc, s14, v40
	v_ashrrev_i32_e32 v27, 31, v26
	v_addc_co_u32_e32 v21, vcc, v82, v41, vcc
	v_lshlrev_b64 v[26:27], 3, v[26:27]
	v_add_co_u32_e32 v32, vcc, s10, v26
	v_addc_co_u32_e32 v33, vcc, v11, v27, vcc
	v_add_co_u32_e32 v26, vcc, s12, v26
	v_addc_co_u32_e32 v27, vcc, v16, v27, vcc
	v_add_u32_e32 v66, 2, v8
	buffer_store_dword v14, off, s[44:47], 0 offset:88 ; 4-byte Folded Spill
	global_load_dwordx2 v[14:15], v[26:27], off
	v_add_u32_e32 v26, v29, v66
	v_ashrrev_i32_e32 v27, 31, v26
	v_lshlrev_b64 v[26:27], 3, v[26:27]
	global_load_dwordx2 v[118:119], v[32:33], off
	v_add_co_u32_e32 v32, vcc, s10, v26
	v_addc_co_u32_e32 v33, vcc, v11, v27, vcc
	v_add_co_u32_e32 v26, vcc, s12, v26
	v_addc_co_u32_e32 v27, vcc, v16, v27, vcc
	global_load_dwordx4 v[4:7], v[34:35], off
	global_load_dwordx4 v[114:117], v[20:21], off
	global_load_dwordx2 v[62:63], v[32:33], off
	global_load_dwordx2 v[56:57], v[26:27], off
	global_load_dwordx2 v[124:125], v[20:21], off offset:16
	global_load_dwordx2 v[64:65], v[18:19], off offset:16
	v_add_co_u32_e32 v36, vcc, s8, v40
	buffer_store_dword v40, off, s[44:47], 0 offset:312 ; 4-byte Folded Spill
	s_nop 0
	buffer_store_dword v41, off, s[44:47], 0 offset:316 ; 4-byte Folded Spill
	v_mov_b32_e32 v8, s9
	s_waitcnt vmcnt(21)
	v_div_scale_f64 v[48:49], s[0:1], v[0:1], v[0:1], 1.0
	v_rcp_f64_e32 v[50:51], v[48:49]
	v_add_u32_e32 v17, -2, v17
	v_mul_lo_u32 v17, v17, s18
	v_add_u32_e32 v29, s18, v17
	v_add3_u32 v80, v29, v31, v10
	v_lshl_add_u32 v58, s18, 1, v29
	v_add3_u32 v88, v58, v31, v10
	v_add3_u32 v81, v17, v31, v10
	v_add_u32_e32 v83, s18, v58
	v_add_u32_e32 v58, v10, v58
	s_lshl_b32 s29, s19, 1
	v_add_u32_e32 v76, s29, v28
	v_ashrrev_i32_e32 v77, 31, v76
	s_ashr_i32 s31, s29, 31
	s_mul_i32 s34, s19, 3
	s_ashr_i32 s35, s34, 31
	s_lshl_b32 s41, s39, 1
	s_mul_i32 s42, s38, 3
	s_lshl_b32 s43, s38, 2
	s_waitcnt vmcnt(11)
	v_fmac_f64_e32 v[22:23], 2.0, v[38:39]
	s_waitcnt vmcnt(7)
	v_div_scale_f64 v[26:27], s[0:1], v[4:5], v[4:5], 1.0
	v_rcp_f64_e32 v[32:33], v[26:27]
	s_waitcnt vmcnt(6)
	v_mul_f64 v[22:23], v[22:23], v[114:115]
	v_mul_f64 v[22:23], v[114:115], v[22:23]
	v_addc_co_u32_e32 v37, vcc, v8, v41, vcc
	global_load_dwordx4 v[18:21], v[36:37], off
	global_load_dwordx4 v[40:43], v[36:37], off offset:-16
	s_nop 0
	buffer_store_dword v52, off, s[44:47], 0 offset:452 ; 4-byte Folded Spill
	s_nop 0
	buffer_store_dword v53, off, s[44:47], 0 offset:456 ; 4-byte Folded Spill
	v_fma_f64 v[44:45], -v[26:27], v[32:33], 1.0
	v_fmac_f64_e32 v[32:33], v[32:33], v[44:45]
	v_fma_f64 v[44:45], -v[26:27], v[32:33], 1.0
	v_fmac_f64_e32 v[32:33], v[32:33], v[44:45]
	v_div_scale_f64 v[44:45], vcc, 1.0, v[4:5], 1.0
	v_mul_f64 v[46:47], v[44:45], v[32:33]
	v_fma_f64 v[26:27], -v[26:27], v[46:47], v[44:45]
	s_load_dwordx4 s[0:3], s[4:5], 0x68
	s_nop 0
	v_div_fmas_f64 v[26:27], v[26:27], v[32:33], v[46:47]
	v_fma_f64 v[32:33], -v[48:49], v[50:51], 1.0
	v_fmac_f64_e32 v[50:51], v[50:51], v[32:33]
	v_fma_f64 v[32:33], -v[48:49], v[50:51], 1.0
	v_fmac_f64_e32 v[50:51], v[50:51], v[32:33]
	v_div_scale_f64 v[32:33], vcc, 1.0, v[0:1], 1.0
	v_mul_f64 v[44:45], v[32:33], v[50:51]
	v_fma_f64 v[32:33], -v[48:49], v[44:45], v[32:33]
	s_waitcnt vmcnt(3)
	v_add_f64 v[20:21], v[20:21], -v[18:19]
	v_div_fmas_f64 v[32:33], v[32:33], v[50:51], v[44:45]
	v_fma_f64 v[44:45], 2.0, v[126:127], v[52:53]
	buffer_store_dword v44, off, s[44:47], 0 offset:700 ; 4-byte Folded Spill
	s_nop 0
	buffer_store_dword v45, off, s[44:47], 0 offset:704 ; 4-byte Folded Spill
	buffer_store_dword v12, off, s[44:47], 0 offset:460 ; 4-byte Folded Spill
	s_nop 0
	buffer_store_dword v13, off, s[44:47], 0 offset:464 ; 4-byte Folded Spill
	v_mul_f64 v[50:51], v[0:1], v[22:23]
	s_waitcnt vmcnt(6)
	v_add_f64 v[40:41], v[40:41], -v[18:19]
	v_mul_f64 v[22:23], v[4:5], v[22:23]
	v_mul_f64 v[44:45], v[44:45], v[110:111]
	v_fma_f64 v[12:13], 2.0, v[86:87], v[12:13]
	buffer_store_dword v12, off, s[44:47], 0 offset:676 ; 4-byte Folded Spill
	s_nop 0
	buffer_store_dword v13, off, s[44:47], 0 offset:680 ; 4-byte Folded Spill
	buffer_store_dword v14, off, s[44:47], 0 offset:484 ; 4-byte Folded Spill
	s_nop 0
	buffer_store_dword v15, off, s[44:47], 0 offset:488 ; 4-byte Folded Spill
	v_mul_f64 v[44:45], v[110:111], v[44:45]
	v_fma_f64 v[60:61], v[120:121], v[44:45], v[50:51]
	v_mul_f64 v[46:47], v[12:13], v[112:113]
	v_fma_f64 v[12:13], 2.0, v[118:119], v[14:15]
	buffer_store_dword v12, off, s[44:47], 0 offset:540 ; 4-byte Folded Spill
	s_nop 0
	buffer_store_dword v13, off, s[44:47], 0 offset:544 ; 4-byte Folded Spill
	buffer_store_dword v56, off, s[44:47], 0 offset:524 ; 4-byte Folded Spill
	s_nop 0
	buffer_store_dword v57, off, s[44:47], 0 offset:528 ; 4-byte Folded Spill
	v_mul_f64 v[46:47], v[112:113], v[46:47]
	v_mul_f64 v[48:49], v[122:123], v[46:47]
	v_fma_f64 v[46:47], v[122:123], v[46:47], v[50:51]
	v_pk_mov_b32 v[70:71], v[48:49], v[48:49] op_sel:[0,1]
	v_fmac_f64_e32 v[70:71], 0xbfe80000, v[60:61]
	v_add3_u32 v61, v83, v31, v10
	v_add_u32_e32 v60, v10, v17
	v_add_u32_e32 v31, v10, v29
	v_mul_f64 v[52:53], v[12:13], v[116:117]
	v_fma_f64 v[12:13], 2.0, v[62:63], v[56:57]
	buffer_store_dword v12, off, s[44:47], 0 offset:620 ; 4-byte Folded Spill
	s_nop 0
	buffer_store_dword v13, off, s[44:47], 0 offset:624 ; 4-byte Folded Spill
	v_mul_f64 v[52:53], v[116:117], v[52:53]
	v_mul_f64 v[54:55], v[2:3], v[52:53]
	v_fma_f64 v[44:45], v[120:121], v[44:45], v[54:55]
	v_fmac_f64_e32 v[44:45], 0x40080000, v[46:47]
	v_fma_f64 v[46:47], v[2:3], v[52:53], v[50:51]
	v_mul_f64 v[56:57], v[12:13], v[124:125]
	v_mul_f64 v[56:57], v[124:125], v[56:57]
	v_fmac_f64_e32 v[48:49], v[64:65], v[56:57]
	v_fmac_f64_e32 v[48:49], 0x40080000, v[46:47]
	global_load_dwordx2 v[46:47], v[36:37], off offset:16
	v_add_f64 v[36:37], v[42:43], -v[18:19]
	v_mul_f64 v[36:37], v[44:45], v[36:37]
	v_fmac_f64_e32 v[36:37], v[70:71], v[40:41]
	v_add_u32_e32 v40, s19, v80
	v_ashrrev_i32_e32 v41, 31, v40
	v_fmac_f64_e32 v[36:37], v[48:49], v[20:21]
	v_lshlrev_b64 v[48:49], 3, v[40:41]
	v_add_u32_e32 v40, s19, v88
	v_add_u32_e32 v20, s19, v81
	v_ashrrev_i32_e32 v41, 31, v40
	v_ashrrev_i32_e32 v21, 31, v20
	v_lshlrev_b64 v[52:53], 3, v[40:41]
	v_add_u32_e32 v40, s19, v61
	v_lshlrev_b64 v[20:21], 3, v[20:21]
	v_ashrrev_i32_e32 v41, 31, v40
	v_fmac_f64_e32 v[50:51], v[64:65], v[56:57]
	v_lshlrev_b64 v[56:57], 3, v[40:41]
	v_add_co_u32_e32 v40, vcc, s8, v20
	v_addc_co_u32_e32 v41, vcc, v8, v21, vcc
	v_add_co_u32_e32 v42, vcc, s8, v48
	v_addc_co_u32_e32 v43, vcc, v8, v49, vcc
	;; [unrolled: 2-line block ×3, first 2 shown]
	global_load_dwordx2 v[40:41], v[40:41], off
	v_fmac_f64_e32 v[54:55], 0xbfe80000, v[50:51]
	global_load_dwordx2 v[42:43], v[42:43], off
	v_lshlrev_b64 v[12:13], 3, v[76:77]
	global_load_dwordx2 v[70:71], v[44:45], off
	v_add_co_u32_e32 v44, vcc, s8, v56
	v_addc_co_u32_e32 v45, vcc, v8, v57, vcc
	global_load_dwordx2 v[72:73], v[44:45], off
	s_waitcnt vmcnt(4)
	v_add_f64 v[44:45], v[46:47], -v[18:19]
	v_fmac_f64_e32 v[36:37], v[54:55], v[44:45]
	v_add_u32_e32 v44, v60, v9
	v_ashrrev_i32_e32 v45, 31, v44
	v_lshlrev_b64 v[50:51], 3, v[44:45]
	v_add_co_u32_e32 v54, vcc, s10, v50
	v_addc_co_u32_e32 v55, vcc, v11, v51, vcc
	v_add_u32_e32 v44, v31, v9
	v_add_co_u32_e32 v20, vcc, s14, v20
	v_ashrrev_i32_e32 v45, 31, v44
	v_addc_co_u32_e32 v21, vcc, v82, v21, vcc
	v_lshlrev_b64 v[74:75], 3, v[44:45]
	s_waitcnt vmcnt(3)
	v_add_f64 v[44:45], v[40:41], -v[18:19]
	s_waitcnt vmcnt(2)
	v_add_f64 v[46:47], v[42:43], -v[18:19]
	;; [unrolled: 2-line block ×4, first 2 shown]
	v_add_co_u32_e32 v18, vcc, s10, v74
	v_addc_co_u32_e32 v19, vcc, v11, v75, vcc
	v_add_co_u32_e32 v48, vcc, s14, v48
	v_addc_co_u32_e32 v49, vcc, v82, v49, vcc
	;; [unrolled: 2-line block ×5, first 2 shown]
	global_load_dwordx2 v[96:97], v[54:55], off
	s_nop 0
	global_load_dwordx2 v[50:51], v[50:51], off
	s_nop 0
	global_load_dwordx2 v[98:99], v[20:21], off
	global_load_dwordx2 v[84:85], v[18:19], off
	s_nop 0
	global_load_dwordx2 v[20:21], v[70:71], off
	global_load_dwordx2 v[90:91], v[48:49], off
	s_waitcnt vmcnt(4)
	buffer_store_dword v50, off, s[44:47], 0 offset:40 ; 4-byte Folded Spill
	s_nop 0
	buffer_store_dword v51, off, s[44:47], 0 offset:44 ; 4-byte Folded Spill
	v_add_u32_e32 v72, v58, v9
	v_ashrrev_i32_e32 v73, 31, v72
	v_lshlrev_b64 v[72:73], 3, v[72:73]
	v_add_co_u32_e32 v74, vcc, s10, v72
	v_addc_co_u32_e32 v75, vcc, v11, v73, vcc
	v_add_co_u32_e32 v72, vcc, s12, v72
	v_addc_co_u32_e32 v73, vcc, v16, v73, vcc
	v_add_co_u32_e32 v78, vcc, s8, v12
	v_fma_f64 v[18:19], 2.0, v[96:97], v[50:51]
	buffer_store_dword v18, off, s[44:47], 0 offset:400 ; 4-byte Folded Spill
	s_nop 0
	buffer_store_dword v19, off, s[44:47], 0 offset:404 ; 4-byte Folded Spill
	s_waitcnt vmcnt(5)
	buffer_store_dword v20, off, s[44:47], 0 offset:32 ; 4-byte Folded Spill
	s_nop 0
	buffer_store_dword v21, off, s[44:47], 0 offset:36 ; 4-byte Folded Spill
	v_add_u32_e32 v50, s29, v80
	v_ashrrev_i32_e32 v51, 31, v50
	v_mul_f64 v[18:19], v[98:99], v[18:19]
	v_fma_f64 v[20:21], 2.0, v[84:85], v[20:21]
	buffer_store_dword v20, off, s[44:47], 0 offset:392 ; 4-byte Folded Spill
	s_nop 0
	buffer_store_dword v21, off, s[44:47], 0 offset:396 ; 4-byte Folded Spill
	global_load_dwordx4 v[92:95], v[34:35], off offset:-16
	v_mul_f64 v[18:19], v[98:99], v[18:19]
	s_waitcnt vmcnt(9)
	v_mul_f64 v[20:21], v[90:91], v[20:21]
	v_mul_f64 v[20:21], v[90:91], v[20:21]
	s_waitcnt vmcnt(0)
	v_mul_f64 v[54:55], v[94:95], v[20:21]
	v_fma_f64 v[48:49], v[92:93], v[18:19], v[22:23]
	v_pk_mov_b32 v[70:71], v[54:55], v[54:55] op_sel:[0,1]
	v_fmac_f64_e32 v[70:71], 0xbfe80000, v[48:49]
	global_load_dwordx2 v[100:101], v[74:75], off
	global_load_dwordx2 v[48:49], v[72:73], off
	;; [unrolled: 1-line block ×3, first 2 shown]
	s_waitcnt vmcnt(1)
	buffer_store_dword v48, off, s[44:47], 0 offset:48 ; 4-byte Folded Spill
	s_nop 0
	buffer_store_dword v49, off, s[44:47], 0 offset:52 ; 4-byte Folded Spill
	v_fma_f64 v[48:49], 2.0, v[100:101], v[48:49]
	buffer_store_dword v48, off, s[44:47], 0 offset:408 ; 4-byte Folded Spill
	s_nop 0
	buffer_store_dword v49, off, s[44:47], 0 offset:412 ; 4-byte Folded Spill
	buffer_store_dword v12, off, s[44:47], 0 ; 4-byte Folded Spill
	s_nop 0
	buffer_store_dword v13, off, s[44:47], 0 offset:4 ; 4-byte Folded Spill
	buffer_store_dword v80, off, s[44:47], 0 offset:432 ; 4-byte Folded Spill
	s_waitcnt vmcnt(7)
	v_mul_f64 v[48:49], v[102:103], v[48:49]
	v_mul_f64 v[72:73], v[102:103], v[48:49]
	;; [unrolled: 1-line block ×3, first 2 shown]
	v_fma_f64 v[48:49], v[92:93], v[18:19], v[74:75]
	v_fma_f64 v[18:19], v[94:95], v[20:21], v[22:23]
	v_addc_co_u32_e32 v79, vcc, v8, v13, vcc
	v_lshlrev_b64 v[12:13], 3, v[50:51]
	v_fmac_f64_e32 v[48:49], 0x40080000, v[18:19]
	v_add_co_u32_e32 v18, vcc, s8, v12
	buffer_store_dword v12, off, s[44:47], 0 offset:516 ; 4-byte Folded Spill
	s_nop 0
	buffer_store_dword v13, off, s[44:47], 0 offset:520 ; 4-byte Folded Spill
	v_addc_co_u32_e32 v19, vcc, v8, v13, vcc
	global_load_dwordx2 v[52:53], v[18:19], off
	s_nop 0
	global_load_dwordx4 v[18:21], v[78:79], off offset:-8
	s_waitcnt vmcnt(0)
	v_add_f64 v[52:53], v[52:53], -v[20:21]
	v_mul_f64 v[48:49], v[52:53], v[48:49]
	v_add_u32_e32 v52, s29, v81
	v_ashrrev_i32_e32 v53, 31, v52
	v_lshlrev_b64 v[12:13], 3, v[52:53]
	buffer_store_dword v81, off, s[44:47], 0 offset:436 ; 4-byte Folded Spill
	v_add_co_u32_e32 v80, vcc, s8, v12
	buffer_store_dword v12, off, s[44:47], 0 offset:548 ; 4-byte Folded Spill
	s_nop 0
	buffer_store_dword v13, off, s[44:47], 0 offset:552 ; 4-byte Folded Spill
	v_add_u32_e32 v53, v10, v83
	v_add_f64 v[18:19], v[18:19], -v[20:21]
	v_addc_co_u32_e32 v81, vcc, v8, v13, vcc
	global_load_dwordx2 v[80:81], v[80:81], off
	v_add_co_u32_e32 v56, vcc, s14, v56
	v_addc_co_u32_e32 v57, vcc, v82, v57, vcc
	s_waitcnt vmcnt(0)
	v_add_f64 v[80:81], v[80:81], -v[20:21]
	v_fmac_f64_e32 v[48:49], v[80:81], v[70:71]
	v_add_u32_e32 v70, v53, v9
	v_ashrrev_i32_e32 v71, 31, v70
	v_lshlrev_b64 v[70:71], 3, v[70:71]
	v_add_co_u32_e32 v10, vcc, s10, v70
	v_addc_co_u32_e32 v11, vcc, v11, v71, vcc
	v_add_co_u32_e32 v70, vcc, s12, v70
	v_addc_co_u32_e32 v71, vcc, v16, v71, vcc
	global_load_dwordx2 v[106:107], v[10:11], off
	s_nop 0
	global_load_dwordx2 v[10:11], v[70:71], off
	global_load_dwordx2 v[108:109], v[56:57], off
	global_load_dwordx2 v[104:105], v[34:35], off offset:16
	s_waitcnt vmcnt(2)
	buffer_store_dword v10, off, s[44:47], 0 offset:64 ; 4-byte Folded Spill
	s_nop 0
	buffer_store_dword v11, off, s[44:47], 0 offset:68 ; 4-byte Folded Spill
	v_add_u32_e32 v34, s29, v88
	v_ashrrev_i32_e32 v35, 31, v34
	v_fma_f64 v[16:17], v[6:7], v[72:73], v[22:23]
	v_lshlrev_b64 v[12:13], 3, v[34:35]
	v_mov_b32_e32 v9, s31
	v_add_u32_e32 v34, s19, v34
	v_ashrrev_i32_e32 v35, 31, v34
	v_fma_f64 v[10:11], 2.0, v[106:107], v[10:11]
	buffer_store_dword v10, off, s[44:47], 0 offset:444 ; 4-byte Folded Spill
	s_nop 0
	buffer_store_dword v11, off, s[44:47], 0 offset:448 ; 4-byte Folded Spill
	buffer_store_dword v88, off, s[44:47], 0 offset:440 ; 4-byte Folded Spill
	s_waitcnt vmcnt(6)
	v_mul_f64 v[10:11], v[108:109], v[10:11]
	v_mul_f64 v[10:11], v[108:109], v[10:11]
	s_waitcnt vmcnt(5)
	v_fmac_f64_e32 v[54:55], v[104:105], v[10:11]
	v_fmac_f64_e32 v[54:55], 0x40080000, v[16:17]
	v_add_co_u32_e32 v16, vcc, s8, v12
	buffer_store_dword v12, off, s[44:47], 0 offset:556 ; 4-byte Folded Spill
	s_nop 0
	buffer_store_dword v13, off, s[44:47], 0 offset:560 ; 4-byte Folded Spill
	v_fmac_f64_e32 v[22:23], v[104:105], v[10:11]
	v_add_u32_e32 v10, s29, v61
	v_ashrrev_i32_e32 v11, 31, v10
	v_fmac_f64_e32 v[74:75], 0xbfe80000, v[22:23]
	v_addc_co_u32_e32 v17, vcc, v8, v13, vcc
	global_load_dwordx2 v[16:17], v[16:17], off
	v_lshlrev_b64 v[12:13], 3, v[10:11]
	v_add_u32_e32 v10, s19, v10
	v_ashrrev_i32_e32 v11, 31, v10
	s_waitcnt vmcnt(0)
	v_add_f64 v[16:17], v[16:17], -v[20:21]
	v_fmac_f64_e32 v[48:49], v[16:17], v[54:55]
	v_add_co_u32_e32 v16, vcc, s8, v12
	buffer_store_dword v12, off, s[44:47], 0 offset:612 ; 4-byte Folded Spill
	s_nop 0
	buffer_store_dword v13, off, s[44:47], 0 offset:616 ; 4-byte Folded Spill
	v_pk_mov_b32 v[54:55], v[116:117], v[116:117] op_sel:[0,1]
	v_addc_co_u32_e32 v17, vcc, v8, v13, vcc
	global_load_dwordx2 v[16:17], v[16:17], off
	s_nop 0
	buffer_store_dword v126, off, s[44:47], 0 offset:564 ; 4-byte Folded Spill
	s_nop 0
	buffer_store_dword v127, off, s[44:47], 0 offset:568 ; 4-byte Folded Spill
	buffer_store_dword v86, off, s[44:47], 0 offset:588 ; 4-byte Folded Spill
	s_nop 0
	buffer_store_dword v87, off, s[44:47], 0 offset:592 ; 4-byte Folded Spill
	s_waitcnt vmcnt(4)
	v_add_f64 v[16:17], v[16:17], -v[20:21]
	v_fmac_f64_e32 v[48:49], v[16:17], v[74:75]
	v_mul_f64 v[16:17], v[38:39], v[114:115]
	v_mul_f64 v[38:39], v[114:115], v[16:17]
	v_mul_f64 v[16:17], v[126:127], v[110:111]
	v_mul_f64 v[56:57], v[110:111], v[16:17]
	v_mul_f64 v[16:17], v[86:87], v[112:113]
	buffer_store_dword v110, off, s[44:47], 0 offset:500 ; 4-byte Folded Spill
	s_nop 0
	buffer_store_dword v111, off, s[44:47], 0 offset:504 ; 4-byte Folded Spill
	buffer_store_dword v112, off, s[44:47], 0 offset:508 ; 4-byte Folded Spill
	;; [unrolled: 1-line block ×4, first 2 shown]
	s_nop 0
	buffer_store_dword v119, off, s[44:47], 0 offset:496 ; 4-byte Folded Spill
	v_mul_f64 v[72:73], v[0:1], v[38:39]
	buffer_store_dword v52, off, s[44:47], 0 offset:468 ; 4-byte Folded Spill
	s_nop 0
	buffer_store_dword v53, off, s[44:47], 0 offset:472 ; 4-byte Folded Spill
	buffer_store_dword v54, off, s[44:47], 0 offset:476 ; 4-byte Folded Spill
	;; [unrolled: 1-line block ×3, first 2 shown]
	v_mov_b32_e32 v114, v28
	v_mul_f64 v[12:13], v[112:113], v[16:17]
	v_fma_f64 v[16:17], v[120:121], v[56:57], v[72:73]
	buffer_store_dword v56, off, s[44:47], 0 offset:652 ; 4-byte Folded Spill
	s_nop 0
	buffer_store_dword v57, off, s[44:47], 0 offset:656 ; 4-byte Folded Spill
	v_mul_f64 v[70:71], v[122:123], v[12:13]
	v_pk_mov_b32 v[22:23], v[70:71], v[70:71] op_sel:[0,1]
	v_fmac_f64_e32 v[22:23], 0xbfe80000, v[16:17]
	v_mul_f64 v[16:17], v[118:119], v[116:117]
	v_mul_f64 v[86:87], v[116:117], v[16:17]
	;; [unrolled: 1-line block ×3, first 2 shown]
	v_ashrrev_i32_e32 v113, 31, v114
	v_fma_f64 v[80:81], v[120:121], v[56:57], v[74:75]
	buffer_store_dword v120, off, s[44:47], 0 offset:596 ; 4-byte Folded Spill
	s_nop 0
	buffer_store_dword v121, off, s[44:47], 0 offset:600 ; 4-byte Folded Spill
	buffer_store_dword v122, off, s[44:47], 0 offset:604 ; 4-byte Folded Spill
	;; [unrolled: 1-line block ×4, first 2 shown]
	s_nop 0
	buffer_store_dword v13, off, s[44:47], 0 offset:640 ; 4-byte Folded Spill
	global_load_dwordx4 v[54:57], v[78:79], off offset:8
	v_fma_f64 v[16:17], v[122:123], v[12:13], v[72:73]
	v_fmac_f64_e32 v[80:81], 0x40080000, v[16:17]
	v_add_co_u32_e32 v16, vcc, s29, v114
	v_addc_co_u32_e32 v17, vcc, v113, v9, vcc
	v_lshlrev_b64 v[16:17], 3, v[16:17]
	v_add_co_u32_e32 v16, vcc, s8, v16
	v_addc_co_u32_e32 v17, vcc, v8, v17, vcc
	global_load_dwordx2 v[16:17], v[16:17], off offset:-16
	v_mul_f64 v[82:83], v[80:81], v[18:19]
	v_mov_b32_e32 v9, s35
	s_waitcnt vmcnt(1)
	v_add_f64 v[54:55], v[54:55], -v[20:21]
	v_add_f64 v[56:57], v[56:57], -v[20:21]
	s_waitcnt vmcnt(0)
	v_add_f64 v[16:17], v[16:17], -v[20:21]
	v_fmac_f64_e32 v[82:83], v[22:23], v[16:17]
	v_add_co_u32_e32 v16, vcc, s34, v114
	v_addc_co_u32_e32 v17, vcc, v113, v9, vcc
	v_lshlrev_b64 v[16:17], 3, v[16:17]
	v_add_co_u32_e32 v20, vcc, s8, v16
	v_add_u32_e32 v16, s19, v76
	v_addc_co_u32_e32 v21, vcc, v8, v17, vcc
	v_ashrrev_i32_e32 v17, 31, v16
	v_lshlrev_b64 v[88:89], 3, v[16:17]
	v_add_co_u32_e32 v76, vcc, s8, v88
	v_addc_co_u32_e32 v77, vcc, v8, v89, vcc
	global_load_dwordx4 v[16:19], v[76:77], off offset:-8
	s_nop 0
	global_load_dwordx2 v[20:21], v[20:21], off offset:-16
	s_nop 0
	buffer_store_dword v62, off, s[44:47], 0 offset:572 ; 4-byte Folded Spill
	s_nop 0
	buffer_store_dword v63, off, s[44:47], 0 offset:576 ; 4-byte Folded Spill
	s_waitcnt vmcnt(3)
	v_add_f64 v[16:17], v[16:17], -v[18:19]
	v_mul_f64 v[16:17], v[80:81], v[16:17]
	s_waitcnt vmcnt(2)
	v_add_f64 v[20:21], v[20:21], -v[18:19]
	v_fmac_f64_e32 v[16:17], v[22:23], v[20:21]
	v_mul_f64 v[20:21], v[62:63], v[124:125]
	buffer_store_dword v124, off, s[44:47], 0 offset:532 ; 4-byte Folded Spill
	s_nop 0
	buffer_store_dword v125, off, s[44:47], 0 offset:536 ; 4-byte Folded Spill
	buffer_store_dword v86, off, s[44:47], 0 offset:644 ; 4-byte Folded Spill
	s_nop 0
	buffer_store_dword v87, off, s[44:47], 0 offset:648 ; 4-byte Folded Spill
	v_mul_f64 v[12:13], v[124:125], v[20:21]
	v_fmac_f64_e32 v[70:71], v[64:65], v[12:13]
	v_fma_f64 v[20:21], v[2:3], v[86:87], v[72:73]
	v_fmac_f64_e32 v[70:71], 0x40080000, v[20:21]
	global_load_dwordx4 v[20:23], v[76:77], off offset:8
	s_nop 0
	buffer_store_dword v64, off, s[44:47], 0 offset:580 ; 4-byte Folded Spill
	s_nop 0
	buffer_store_dword v65, off, s[44:47], 0 offset:584 ; 4-byte Folded Spill
	buffer_store_dword v12, off, s[44:47], 0 offset:684 ; 4-byte Folded Spill
	s_nop 0
	buffer_store_dword v13, off, s[44:47], 0 offset:688 ; 4-byte Folded Spill
	buffer_store_dword v96, off, s[44:47], 0 offset:376 ; 4-byte Folded Spill
	s_nop 0
	buffer_store_dword v97, off, s[44:47], 0 offset:380 ; 4-byte Folded Spill
	v_fmac_f64_e32 v[82:83], v[70:71], v[54:55]
	s_waitcnt vmcnt(6)
	v_add_f64 v[20:21], v[20:21], -v[18:19]
	v_fmac_f64_e32 v[72:73], v[64:65], v[12:13]
	v_fmac_f64_e32 v[16:17], v[70:71], v[20:21]
	;; [unrolled: 1-line block ×3, first 2 shown]
	v_add_f64 v[20:21], v[22:23], -v[18:19]
	v_fmac_f64_e32 v[16:17], v[74:75], v[20:21]
	v_mul_f64 v[20:21], v[96:97], v[98:99]
	buffer_store_dword v98, off, s[44:47], 0 offset:16 ; 4-byte Folded Spill
	s_nop 0
	buffer_store_dword v99, off, s[44:47], 0 offset:20 ; 4-byte Folded Spill
	buffer_store_dword v84, off, s[44:47], 0 offset:352 ; 4-byte Folded Spill
	s_nop 0
	buffer_store_dword v85, off, s[44:47], 0 offset:356 ; 4-byte Folded Spill
	v_fmac_f64_e32 v[82:83], v[74:75], v[56:57]
	v_mul_f64 v[56:57], v[98:99], v[20:21]
	v_mul_f64 v[20:21], v[84:85], v[90:91]
	buffer_store_dword v90, off, s[44:47], 0 offset:8 ; 4-byte Folded Spill
	s_nop 0
	buffer_store_dword v91, off, s[44:47], 0 offset:12 ; 4-byte Folded Spill
	buffer_store_dword v100, off, s[44:47], 0 offset:384 ; 4-byte Folded Spill
	s_nop 0
	buffer_store_dword v101, off, s[44:47], 0 offset:388 ; 4-byte Folded Spill
	v_div_fixup_f64 v[84:85], v[26:27], v[4:5], 1.0
	v_add_u32_e32 v98, s17, v67
	v_mul_f64 v[12:13], v[90:91], v[20:21]
	v_mul_f64 v[20:21], v[4:5], v[38:39]
	;; [unrolled: 1-line block ×3, first 2 shown]
	v_fma_f64 v[38:39], v[92:93], v[56:57], v[20:21]
	v_pk_mov_b32 v[54:55], v[22:23], v[22:23] op_sel:[0,1]
	v_fmac_f64_e32 v[54:55], 0xbfe80000, v[38:39]
	v_mul_f64 v[38:39], v[100:101], v[102:103]
	buffer_store_dword v102, off, s[44:47], 0 offset:24 ; 4-byte Folded Spill
	s_nop 0
	buffer_store_dword v103, off, s[44:47], 0 offset:28 ; 4-byte Folded Spill
	buffer_store_dword v56, off, s[44:47], 0 offset:724 ; 4-byte Folded Spill
	s_nop 0
	buffer_store_dword v57, off, s[44:47], 0 offset:728 ; 4-byte Folded Spill
	v_div_fixup_f64 v[90:91], v[32:33], v[0:1], 1.0
	v_mul_f64 v[120:121], v[90:91], v[84:85]
	v_mul_f64 v[62:63], v[102:103], v[38:39]
	;; [unrolled: 1-line block ×3, first 2 shown]
	v_fma_f64 v[56:57], v[92:93], v[56:57], v[38:39]
	buffer_store_dword v92, off, s[44:47], 0 offset:360 ; 4-byte Folded Spill
	s_nop 0
	buffer_store_dword v93, off, s[44:47], 0 offset:364 ; 4-byte Folded Spill
	buffer_store_dword v94, off, s[44:47], 0 offset:368 ; 4-byte Folded Spill
	;; [unrolled: 1-line block ×4, first 2 shown]
	s_nop 0
	buffer_store_dword v13, off, s[44:47], 0 offset:712 ; 4-byte Folded Spill
	v_fma_f64 v[70:71], v[94:95], v[12:13], v[20:21]
	v_fmac_f64_e32 v[56:57], 0x40080000, v[70:71]
	v_mul_f64 v[46:47], v[56:57], v[46:47]
	v_fmac_f64_e32 v[46:47], v[54:55], v[44:45]
	v_add_u32_e32 v44, s19, v50
	v_ashrrev_i32_e32 v45, 31, v44
	v_lshlrev_b64 v[12:13], 3, v[44:45]
	v_add_co_u32_e32 v44, vcc, s8, v12
	buffer_store_dword v12, off, s[44:47], 0 offset:628 ; 4-byte Folded Spill
	s_nop 0
	buffer_store_dword v13, off, s[44:47], 0 offset:632 ; 4-byte Folded Spill
	v_add_u32_e32 v50, s19, v52
	v_ashrrev_i32_e32 v51, 31, v50
	v_addc_co_u32_e32 v45, vcc, v8, v13, vcc
	v_lshlrev_b64 v[12:13], 3, v[50:51]
	global_load_dwordx2 v[44:45], v[44:45], off
	v_add_co_u32_e32 v50, vcc, s8, v12
	buffer_store_dword v12, off, s[44:47], 0 offset:668 ; 4-byte Folded Spill
	s_nop 0
	buffer_store_dword v13, off, s[44:47], 0 offset:672 ; 4-byte Folded Spill
	s_waitcnt vmcnt(2)
	v_add_f64 v[44:45], v[44:45], -v[18:19]
	v_mul_f64 v[44:45], v[56:57], v[44:45]
	v_addc_co_u32_e32 v51, vcc, v8, v13, vcc
	global_load_dwordx2 v[50:51], v[50:51], off
	s_nop 0
	buffer_store_dword v106, off, s[44:47], 0 offset:424 ; 4-byte Folded Spill
	s_nop 0
	buffer_store_dword v107, off, s[44:47], 0 offset:428 ; 4-byte Folded Spill
	v_lshlrev_b64 v[12:13], 3, v[34:35]
	v_add_co_u32_e32 v34, vcc, s8, v12
	s_waitcnt vmcnt(2)
	v_add_f64 v[50:51], v[50:51], -v[18:19]
	v_fmac_f64_e32 v[44:45], v[54:55], v[50:51]
	v_mul_f64 v[50:51], v[106:107], v[108:109]
	buffer_store_dword v108, off, s[44:47], 0 offset:56 ; 4-byte Folded Spill
	s_nop 0
	buffer_store_dword v109, off, s[44:47], 0 offset:60 ; 4-byte Folded Spill
	buffer_store_dword v62, off, s[44:47], 0 offset:716 ; 4-byte Folded Spill
	s_nop 0
	buffer_store_dword v63, off, s[44:47], 0 offset:720 ; 4-byte Folded Spill
	buffer_store_dword v12, off, s[44:47], 0 offset:660 ; 4-byte Folded Spill
	s_nop 0
	buffer_store_dword v13, off, s[44:47], 0 offset:664 ; 4-byte Folded Spill
	v_mul_f64 v[54:55], v[108:109], v[50:51]
	v_fmac_f64_e32 v[22:23], v[104:105], v[54:55]
	v_addc_co_u32_e32 v35, vcc, v8, v13, vcc
	v_lshlrev_b64 v[12:13], 3, v[10:11]
	global_load_dwordx2 v[34:35], v[34:35], off
	v_add_co_u32_e32 v10, vcc, s8, v12
	buffer_store_dword v12, off, s[44:47], 0 offset:692 ; 4-byte Folded Spill
	s_nop 0
	buffer_store_dword v13, off, s[44:47], 0 offset:696 ; 4-byte Folded Spill
	v_fma_f64 v[50:51], v[6:7], v[62:63], v[20:21]
	v_fmac_f64_e32 v[22:23], 0x40080000, v[50:51]
	v_fmac_f64_e32 v[46:47], v[22:23], v[42:43]
	s_waitcnt vmcnt(2)
	v_add_f64 v[34:35], v[34:35], -v[18:19]
	v_fmac_f64_e32 v[44:45], v[22:23], v[34:35]
	v_addc_co_u32_e32 v11, vcc, v8, v13, vcc
	global_load_dwordx2 v[8:9], v[10:11], off
	s_nop 0
	buffer_store_dword v104, off, s[44:47], 0 offset:416 ; 4-byte Folded Spill
	s_nop 0
	buffer_store_dword v105, off, s[44:47], 0 offset:420 ; 4-byte Folded Spill
	buffer_store_dword v54, off, s[44:47], 0 offset:732 ; 4-byte Folded Spill
	s_nop 0
	buffer_store_dword v55, off, s[44:47], 0 offset:736 ; 4-byte Folded Spill
	v_fmac_f64_e32 v[20:21], v[104:105], v[54:55]
	s_waitcnt vmcnt(4)
	v_add_f64 v[8:9], v[8:9], -v[18:19]
	v_fmac_f64_e32 v[38:39], 0xbfe80000, v[20:21]
	v_fmac_f64_e32 v[44:45], v[38:39], v[8:9]
	s_waitcnt lgkmcnt(0)
	v_mov_b32_e32 v9, s1
	v_add_co_u32_e32 v8, vcc, s0, v24
	v_addc_co_u32_e32 v9, vcc, v9, v25, vcc
	global_load_dwordx2 v[8:9], v[8:9], off
	s_waitcnt vmcnt(0)
	buffer_store_dword v8, off, s[44:47], 0 offset:328 ; 4-byte Folded Spill
	s_nop 0
	buffer_store_dword v9, off, s[44:47], 0 offset:332 ; 4-byte Folded Spill
	s_load_dword s21, s[4:5], 0x30
	s_load_dwordx2 s[6:7], s[4:5], 0x80
	s_mov_b32 s0, 0x55555555
	s_mov_b32 s1, 0x3fc55555
	v_fmac_f64_e32 v[46:47], v[38:39], v[40:41]
	v_mul_f64 v[10:11], v[36:37], s[0:1]
	s_waitcnt lgkmcnt(0)
	s_add_i32 s41, s21, s41
	v_fma_f64 v[126:127], v[84:85], v[10:11], 0
	v_mul_f64 v[10:11], v[46:47], s[0:1]
	s_sub_i32 s41, s41, s42
	s_mul_i32 s42, s39, 3
	v_fmac_f64_e32 v[126:127], v[90:91], v[10:11]
	v_mul_f64 v[10:11], v[82:83], s[0:1]
	s_add_i32 s42, s21, s42
	v_fma_f64 v[28:29], v[84:85], v[10:11], 0
	v_mul_f64 v[10:11], v[48:49], s[0:1]
	s_sub_i32 s42, s42, s43
	s_add_i32 s39, s21, s39
	s_lshl_b32 s43, s38, 1
	v_fmac_f64_e32 v[28:29], v[90:91], v[10:11]
	v_mul_f64 v[10:11], v[16:17], s[0:1]
	s_add_i32 s41, s41, -5
	s_sub_i32 s39, s39, s43
	v_fma_f64 v[14:15], v[84:85], v[10:11], 0
	v_mul_f64 v[10:11], v[44:45], s[0:1]
	s_add_i32 s0, s21, -7
	s_mul_i32 s41, s41, s37
	s_add_i32 s39, s39, -6
	s_add_i32 s41, s40, s41
	s_add_i32 s42, s42, -4
	s_mul_i32 s39, s39, s37
	s_sub_i32 s38, s0, s38
	s_mul_i32 s42, s42, s37
	s_add_i32 s39, s40, s39
	s_mul_i32 s38, s38, s37
	v_add_u32_e32 v20, s41, v69
	v_fmac_f64_e32 v[14:15], v[90:91], v[10:11]
	s_add_i32 s42, s40, s42
	s_add_i32 s40, s40, s38
	v_add_u32_e32 v70, s39, v69
	v_mad_u64_u32 v[10:11], s[38:39], v20, s18, v[98:99]
	v_add_u32_e32 v9, s42, v69
	v_mov_b32_e32 v8, v10
	buffer_store_dword v8, off, s[44:47], 0 offset:744 ; 4-byte Folded Spill
	s_nop 0
	buffer_store_dword v9, off, s[44:47], 0 offset:748 ; 4-byte Folded Spill
	v_add_u32_e32 v8, s33, v10
	v_add_u32_e32 v21, s40, v69
	v_mad_u64_u32 v[16:17], s[38:39], v21, s18, v[98:99]
	v_sub_u32_e32 v24, s21, v68
	s_add_i32 s30, s21, -8
	s_sub_i32 s1, 0, s22
	s_mov_b32 s37, s0
	v_add_u32_e32 v22, 0x17a, v24
	v_mad_u64_u32 v[12:13], s[38:39], v9, s18, v[98:99]
	v_mov_b32_e32 v10, v12
	buffer_store_dword v10, off, s[44:47], 0 offset:752 ; 4-byte Folded Spill
	s_nop 0
	buffer_store_dword v11, off, s[44:47], 0 offset:756 ; 4-byte Folded Spill
	v_add_u32_e32 v9, s33, v12
	v_mad_u64_u32 v[12:13], s[38:39], v70, s18, v[98:99]
	v_mov_b32_e32 v10, v12
	buffer_store_dword v10, off, s[44:47], 0 offset:760 ; 4-byte Folded Spill
	s_nop 0
	buffer_store_dword v11, off, s[44:47], 0 offset:764 ; 4-byte Folded Spill
	v_add_u32_e32 v10, s33, v12
	v_mov_b32_e32 v12, v16
	v_add_u32_e32 v11, s33, v16
	buffer_store_dword v12, off, s[44:47], 0 offset:768 ; 4-byte Folded Spill
	s_nop 0
	buffer_store_dword v13, off, s[44:47], 0 offset:772 ; 4-byte Folded Spill
.LBB4_2:                                ; =>This Loop Header: Depth=1
                                        ;     Child Loop BB4_3 Depth 2
	v_pk_mov_b32 v[16:17], 0, 0
	v_mov_b32_e32 v38, v22
	v_mov_b32_e32 v18, v11
	;; [unrolled: 1-line block ×5, first 2 shown]
	s_mov_b32 s38, s30
	v_pk_mov_b32 v[32:33], v[16:17], v[16:17] op_sel:[0,1]
	v_pk_mov_b32 v[26:27], v[16:17], v[16:17] op_sel:[0,1]
	v_pk_mov_b32 v[36:37], v[16:17], v[16:17] op_sel:[0,1]
	v_pk_mov_b32 v[34:35], v[16:17], v[16:17] op_sel:[0,1]
	v_pk_mov_b32 v[40:41], v[16:17], v[16:17] op_sel:[0,1]
.LBB4_3:                                ;   Parent Loop BB4_2 Depth=1
                                        ; =>  This Inner Loop Header: Depth=2
	v_ashrrev_i32_e32 v39, 31, v38
	v_lshlrev_b64 v[42:43], 3, v[38:39]
	v_add_u32_e32 v44, s1, v18
	v_add_co_u32_e32 v42, vcc, s24, v42
	v_mov_b32_e32 v39, s25
	v_ashrrev_i32_e32 v45, 31, v44
	v_addc_co_u32_e32 v43, vcc, v39, v43, vcc
	v_lshlrev_b64 v[46:47], 3, v[44:45]
	v_add_co_u32_e32 v44, vcc, s10, v46
	v_mov_b32_e32 v39, s11
	v_addc_co_u32_e32 v45, vcc, v39, v47, vcc
	v_add_u32_e32 v50, s1, v19
	v_add_co_u32_e32 v46, vcc, s12, v46
	v_mov_b32_e32 v39, s13
	v_ashrrev_i32_e32 v51, 31, v50
	v_addc_co_u32_e32 v47, vcc, v39, v47, vcc
	v_lshlrev_b64 v[50:51], 3, v[50:51]
	v_add_u32_e32 v56, s1, v25
	v_add_co_u32_e32 v50, vcc, s14, v50
	v_mov_b32_e32 v39, s15
	v_ashrrev_i32_e32 v57, 31, v56
	v_addc_co_u32_e32 v51, vcc, v39, v51, vcc
	v_lshlrev_b64 v[56:57], 3, v[56:57]
	v_add_co_u32_e32 v56, vcc, s14, v56
	v_add_u32_e32 v72, s1, v23
	v_addc_co_u32_e32 v57, vcc, v39, v57, vcc
	v_ashrrev_i32_e32 v73, 31, v72
	global_load_dwordx2 v[50:51], v[50:51], off
	v_lshlrev_b64 v[72:73], 3, v[72:73]
	global_load_dwordx2 v[56:57], v[56:57], off
	v_add_co_u32_e32 v72, vcc, s14, v72
	global_load_dwordx2 v[44:45], v[44:45], off
	v_addc_co_u32_e32 v73, vcc, v39, v73, vcc
	global_load_dwordx2 v[72:73], v[72:73], off
	s_add_i32 s38, s38, 1
	global_load_dwordx2 v[46:47], v[46:47], off
	v_add_u32_e32 v25, s20, v25
	global_load_dwordx2 v[42:43], v[42:43], off
	v_add_u32_e32 v23, s20, v23
	v_add_u32_e32 v19, s20, v19
	;; [unrolled: 1-line block ×3, first 2 shown]
	v_subrev_u32_e32 v38, 48, v38
	s_cmp_ge_i32 s38, s21
	s_waitcnt vmcnt(4)
	v_mul_f64 v[68:69], v[4:5], v[56:57]
	v_mul_f64 v[68:69], v[56:57], v[68:69]
	v_mul_f64 v[68:69], v[4:5], v[68:69]
	s_waitcnt vmcnt(2)
	v_fma_f64 v[76:77], v[72:73], v[72:73], v[68:69]
	v_mul_f64 v[76:77], v[44:45], v[76:77]
	s_waitcnt vmcnt(1)
	v_fma_f64 v[48:49], 2.0, v[44:45], v[46:47]
	v_mul_f64 v[54:55], v[48:49], v[50:51]
	v_mul_f64 v[54:55], v[0:1], v[54:55]
	;; [unrolled: 1-line block ×3, first 2 shown]
	v_fmac_f64_e32 v[76:77], v[0:1], v[54:55]
	s_waitcnt vmcnt(0)
	v_fmac_f64_e32 v[40:41], v[42:43], v[76:77]
	v_mul_f64 v[76:77], v[0:1], v[50:51]
	v_mul_f64 v[74:75], v[72:73], v[72:73]
	;; [unrolled: 1-line block ×5, first 2 shown]
	v_fmac_f64_e32 v[74:75], v[0:1], v[76:77]
	v_mul_f64 v[54:55], v[56:57], v[54:55]
	v_mul_f64 v[74:75], v[44:45], v[74:75]
	v_fmac_f64_e32 v[68:69], v[0:1], v[76:77]
	v_fmac_f64_e32 v[74:75], v[4:5], v[54:55]
	v_mul_f64 v[48:49], v[48:49], v[72:73]
	v_mul_f64 v[54:55], v[44:45], v[68:69]
	v_fmac_f64_e32 v[54:55], v[72:73], v[48:49]
	v_add_f64 v[44:45], v[44:45], v[46:47]
	v_fmac_f64_e32 v[32:33], v[42:43], v[74:75]
	v_fmac_f64_e32 v[16:17], v[42:43], v[54:55]
	v_mul_f64 v[42:43], v[42:43], v[44:45]
	v_mul_f64 v[44:45], v[50:51], v[42:43]
	;; [unrolled: 1-line block ×3, first 2 shown]
	v_fmac_f64_e32 v[34:35], v[56:57], v[44:45]
	v_fmac_f64_e32 v[36:37], v[44:45], v[72:73]
	;; [unrolled: 1-line block ×3, first 2 shown]
	s_cbranch_scc0 .LBB4_3
; %bb.4:                                ;   in Loop: Header=BB4_2 Depth=1
	s_mul_i32 s38, s37, s20
	v_add_u32_e32 v38, s38, v59
	v_ashrrev_i32_e32 v39, 31, v38
	v_mul_f64 v[18:19], v[120:121], v[40:41]
	v_lshlrev_b64 v[40:41], 3, v[38:39]
	v_add_u32_e32 v38, s19, v38
	v_add_co_u32_e32 v40, vcc, s8, v40
	v_mov_b32_e32 v23, s9
	v_ashrrev_i32_e32 v39, 31, v38
	v_addc_co_u32_e32 v41, vcc, v23, v41, vcc
	v_lshlrev_b64 v[42:43], 3, v[38:39]
	v_add_co_u32_e32 v42, vcc, s8, v42
	v_addc_co_u32_e32 v43, vcc, v23, v43, vcc
	global_load_dwordx2 v[40:41], v[40:41], off
	v_mul_f64 v[32:33], v[120:121], v[32:33]
	global_load_dwordx2 v[42:43], v[42:43], off
	v_mul_f64 v[26:27], v[90:91], v[26:27]
	v_mul_f64 v[16:17], v[120:121], v[16:17]
	s_add_i32 s38, s37, 1
	v_add_u32_e32 v22, -6, v22
	s_cmp_ge_i32 s37, s21
	s_waitcnt vmcnt(0)
	v_mul_f64 v[44:45], v[34:35], v[42:43]
	v_fmac_f64_e32 v[44:45], v[18:19], v[40:41]
	v_mul_f64 v[18:19], v[84:85], v[36:37]
	v_add_u32_e32 v36, s19, v38
	v_ashrrev_i32_e32 v37, 31, v36
	v_lshlrev_b64 v[36:37], 3, v[36:37]
	v_add_co_u32_e32 v36, vcc, s8, v36
	v_addc_co_u32_e32 v37, vcc, v23, v37, vcc
	global_load_dwordx2 v[36:37], v[36:37], off
	v_mul_f64 v[32:33], v[32:33], v[42:43]
	v_fmac_f64_e32 v[32:33], v[34:35], v[40:41]
	s_waitcnt vmcnt(0)
	v_fmac_f64_e32 v[32:33], v[26:27], v[36:37]
	v_mul_f64 v[26:27], v[26:27], v[42:43]
	v_fmac_f64_e32 v[26:27], v[18:19], v[40:41]
	v_fmac_f64_e32 v[44:45], v[18:19], v[36:37]
	;; [unrolled: 1-line block ×3, first 2 shown]
	v_add_f64 v[126:127], v[126:127], v[44:45]
	v_add_f64 v[28:29], v[28:29], v[32:33]
	;; [unrolled: 1-line block ×3, first 2 shown]
	s_cbranch_scc1 .LBB4_6
; %bb.5:                                ;   in Loop: Header=BB4_2 Depth=1
	s_mov_b32 s37, s38
	s_branch .LBB4_2
.LBB4_6:
	buffer_store_dword v28, off, s[44:47], 0 offset:880 ; 4-byte Folded Spill
	s_nop 0
	buffer_store_dword v29, off, s[44:47], 0 offset:884 ; 4-byte Folded Spill
	buffer_store_dword v14, off, s[44:47], 0 offset:872 ; 4-byte Folded Spill
	s_nop 0
	buffer_store_dword v15, off, s[44:47], 0 offset:876 ; 4-byte Folded Spill
	;; [unrolled: 3-line block ×4, first 2 shown]
	buffer_load_dword v8, off, s[44:47], 0 offset:72 ; 4-byte Folded Reload
	v_ashrrev_i32_e32 v25, 31, v24
	v_lshlrev_b64 v[16:17], 3, v[24:25]
	v_add_co_u32_e32 v16, vcc, s26, v16
	s_mul_i32 s1, s20, s21
	v_add_u32_e32 v34, s36, v66
	v_add_u32_e32 v36, v60, v34
	v_add_u32_e32 v40, v58, v34
	v_pk_mov_b32 v[94:95], 0, 0
	s_mul_i32 s0, s20, s0
	v_pk_mov_b32 v[110:111], v[94:95], v[94:95] op_sel:[0,1]
	v_pk_mov_b32 v[62:63], v[94:95], v[94:95] op_sel:[0,1]
	;; [unrolled: 1-line block ×9, first 2 shown]
	s_waitcnt vmcnt(0)
	v_add_u32_e32 v11, s36, v8
	buffer_load_dword v8, off, s[44:47], 0 offset:80 ; 4-byte Folded Reload
	v_add_u32_e32 v37, v60, v11
	v_add_u32_e32 v41, v58, v11
	s_waitcnt vmcnt(0)
	v_add_u32_e32 v9, s36, v8
	buffer_load_dword v8, off, s[44:47], 0 offset:88 ; 4-byte Folded Reload
	v_add_u32_e32 v35, v53, v9
	v_add_u32_e32 v39, v60, v9
	;; [unrolled: 1-line block ×4, first 2 shown]
	s_waitcnt vmcnt(0)
	v_add_u32_e32 v10, s36, v8
	v_mov_b32_e32 v8, s27
	v_addc_co_u32_e32 v17, vcc, v8, v17, vcc
	global_load_dwordx2 v[12:13], v[16:17], off
	v_add_u32_e32 v16, s1, v59
	v_ashrrev_i32_e32 v17, 31, v16
	v_lshlrev_b64 v[18:19], 3, v[16:17]
	v_mov_b32_e32 v8, s11
	v_add_co_u32_e32 v22, vcc, s10, v18
	v_addc_co_u32_e32 v23, vcc, v8, v19, vcc
	v_mov_b32_e32 v8, s13
	v_add_co_u32_e32 v18, vcc, s12, v18
	v_addc_co_u32_e32 v19, vcc, v8, v19, vcc
	s_add_i32 s1, s29, s1
	v_mov_b32_e32 v8, s15
	v_add_u32_e32 v16, s20, v16
	v_ashrrev_i32_e32 v17, 31, v16
	v_add_u32_e32 v25, v53, v10
	v_add_u32_e32 v38, v60, v10
	;; [unrolled: 1-line block ×4, first 2 shown]
	v_pk_mov_b32 v[58:59], v[94:95], v[94:95] op_sel:[0,1]
	s_waitcnt vmcnt(0)
	buffer_store_dword v12, off, s[44:47], 0 offset:776 ; 4-byte Folded Spill
	s_nop 0
	buffer_store_dword v13, off, s[44:47], 0 offset:780 ; 4-byte Folded Spill
	global_load_dwordx2 v[12:13], v[22:23], off
	s_waitcnt vmcnt(0)
	buffer_store_dword v12, off, s[44:47], 0 offset:784 ; 4-byte Folded Spill
	s_nop 0
	buffer_store_dword v13, off, s[44:47], 0 offset:788 ; 4-byte Folded Spill
	global_load_dwordx2 v[12:13], v[18:19], off
	v_add_u32_e32 v18, s1, v30
	v_ashrrev_i32_e32 v19, 31, v18
	v_lshlrev_b64 v[22:23], 3, v[18:19]
	v_add_co_u32_e32 v22, vcc, s14, v22
	v_addc_co_u32_e32 v23, vcc, v8, v23, vcc
	v_add_u32_e32 v18, s19, v18
	v_ashrrev_i32_e32 v19, 31, v18
	v_lshlrev_b64 v[26:27], 3, v[18:19]
	v_add_co_u32_e32 v26, vcc, s14, v26
	v_addc_co_u32_e32 v27, vcc, v8, v27, vcc
	;; [unrolled: 5-line block ×3, first 2 shown]
	v_mov_b32_e32 v8, s9
	s_mov_b32 s1, s30
	s_waitcnt vmcnt(0)
	buffer_store_dword v12, off, s[44:47], 0 offset:792 ; 4-byte Folded Spill
	s_nop 0
	buffer_store_dword v13, off, s[44:47], 0 offset:796 ; 4-byte Folded Spill
	global_load_dwordx2 v[12:13], v[22:23], off
	v_add_u32_e32 v22, v53, v34
	v_add_u32_e32 v32, s29, v22
	v_ashrrev_i32_e32 v33, 31, v32
	v_lshlrev_b64 v[32:33], 3, v[32:33]
	v_add_u32_e32 v23, v53, v11
	v_add_u32_e32 v34, v31, v34
	v_pk_mov_b32 v[52:53], v[94:95], v[94:95] op_sel:[0,1]
	s_waitcnt vmcnt(0)
	buffer_store_dword v12, off, s[44:47], 0 offset:808 ; 4-byte Folded Spill
	s_nop 0
	buffer_store_dword v13, off, s[44:47], 0 offset:812 ; 4-byte Folded Spill
	global_load_dwordx2 v[12:13], v[26:27], off
	s_waitcnt vmcnt(0)
	buffer_store_dword v12, off, s[44:47], 0 offset:800 ; 4-byte Folded Spill
	s_nop 0
	buffer_store_dword v13, off, s[44:47], 0 offset:804 ; 4-byte Folded Spill
	global_load_dwordx2 v[46:47], v[18:19], off
	v_lshlrev_b64 v[18:19], 3, v[16:17]
	v_add_co_u32_e32 v18, vcc, s8, v18
	v_addc_co_u32_e32 v19, vcc, v8, v19, vcc
	global_load_dwordx2 v[12:13], v[18:19], off
	v_add_u32_e32 v16, s19, v16
	v_ashrrev_i32_e32 v17, 31, v16
	v_lshlrev_b64 v[26:27], 3, v[16:17]
	v_add_co_u32_e32 v26, vcc, s8, v26
	v_addc_co_u32_e32 v27, vcc, v8, v27, vcc
	v_add_u32_e32 v16, s19, v16
	v_ashrrev_i32_e32 v17, 31, v16
	v_lshlrev_b64 v[16:17], 3, v[16:17]
	v_add_co_u32_e32 v16, vcc, s8, v16
	v_addc_co_u32_e32 v17, vcc, v8, v17, vcc
	v_add_co_u32_e32 v32, vcc, s8, v32
	v_addc_co_u32_e32 v33, vcc, v8, v33, vcc
	v_add_u32_e32 v18, s29, v25
	v_ashrrev_i32_e32 v19, 31, v18
	v_lshlrev_b64 v[18:19], 3, v[18:19]
	s_waitcnt vmcnt(0)
	buffer_store_dword v12, off, s[44:47], 0 offset:824 ; 4-byte Folded Spill
	s_nop 0
	buffer_store_dword v13, off, s[44:47], 0 offset:828 ; 4-byte Folded Spill
	global_load_dwordx2 v[12:13], v[26:27], off
	v_add_u32_e32 v26, s29, v35
	v_ashrrev_i32_e32 v27, 31, v26
	v_lshlrev_b64 v[26:27], 3, v[26:27]
	s_waitcnt vmcnt(0)
	buffer_store_dword v12, off, s[44:47], 0 offset:832 ; 4-byte Folded Spill
	s_nop 0
	buffer_store_dword v13, off, s[44:47], 0 offset:836 ; 4-byte Folded Spill
	global_load_dwordx2 v[12:13], v[16:17], off
	v_add_u32_e32 v16, s29, v23
	v_ashrrev_i32_e32 v17, 31, v16
	v_lshlrev_b64 v[16:17], 3, v[16:17]
	v_add_co_u32_e32 v16, vcc, s8, v16
	v_addc_co_u32_e32 v17, vcc, v8, v17, vcc
	v_add_co_u32_e32 v18, vcc, s8, v18
	v_addc_co_u32_e32 v19, vcc, v8, v19, vcc
	;; [unrolled: 2-line block ×3, first 2 shown]
	s_waitcnt vmcnt(0)
	buffer_store_dword v12, off, s[44:47], 0 offset:816 ; 4-byte Folded Spill
	s_nop 0
	buffer_store_dword v13, off, s[44:47], 0 offset:820 ; 4-byte Folded Spill
	global_load_dwordx2 v[12:13], v[32:33], off
	v_add_u32_e32 v32, s29, v36
	v_ashrrev_i32_e32 v33, 31, v32
	v_lshlrev_b64 v[32:33], 3, v[32:33]
	v_add_co_u32_e32 v32, vcc, s8, v32
	v_addc_co_u32_e32 v33, vcc, v8, v33, vcc
	s_waitcnt vmcnt(0)
	buffer_store_dword v12, off, s[44:47], 0 offset:72 ; 4-byte Folded Spill
	s_nop 0
	buffer_store_dword v13, off, s[44:47], 0 offset:76 ; 4-byte Folded Spill
	global_load_dwordx2 v[12:13], v[16:17], off
	v_add_u32_e32 v16, s29, v37
	v_ashrrev_i32_e32 v17, 31, v16
	v_lshlrev_b64 v[16:17], 3, v[16:17]
	v_add_co_u32_e32 v16, vcc, s8, v16
	v_addc_co_u32_e32 v17, vcc, v8, v17, vcc
	;; [unrolled: 10-line block ×9, first 2 shown]
	s_waitcnt vmcnt(0)
	buffer_store_dword v12, off, s[44:47], 0 offset:120 ; 4-byte Folded Spill
	s_nop 0
	buffer_store_dword v13, off, s[44:47], 0 offset:124 ; 4-byte Folded Spill
	global_load_dwordx2 v[12:13], v[16:17], off
	s_waitcnt vmcnt(0)
	buffer_store_dword v12, off, s[44:47], 0 offset:152 ; 4-byte Folded Spill
	s_nop 0
	buffer_store_dword v13, off, s[44:47], 0 offset:156 ; 4-byte Folded Spill
	global_load_dwordx2 v[12:13], v[18:19], off
	v_add_u32_e32 v18, s29, v9
	v_ashrrev_i32_e32 v19, 31, v18
	v_lshlrev_b64 v[18:19], 3, v[18:19]
	s_waitcnt vmcnt(0)
	buffer_store_dword v12, off, s[44:47], 0 offset:144 ; 4-byte Folded Spill
	s_nop 0
	buffer_store_dword v13, off, s[44:47], 0 offset:148 ; 4-byte Folded Spill
	global_load_dwordx2 v[12:13], v[26:27], off
	v_add_u32_e32 v26, s19, v22
	v_ashrrev_i32_e32 v27, 31, v26
	v_lshlrev_b64 v[26:27], 3, v[26:27]
	s_waitcnt vmcnt(0)
	buffer_store_dword v12, off, s[44:47], 0 offset:160 ; 4-byte Folded Spill
	s_nop 0
	buffer_store_dword v13, off, s[44:47], 0 offset:164 ; 4-byte Folded Spill
	global_load_dwordx2 v[12:13], v[32:33], off
	v_add_u32_e32 v32, v31, v11
	v_add_u32_e32 v16, s29, v32
	v_ashrrev_i32_e32 v17, 31, v16
	v_lshlrev_b64 v[16:17], 3, v[16:17]
	v_add_co_u32_e32 v16, vcc, s8, v16
	v_addc_co_u32_e32 v17, vcc, v8, v17, vcc
	v_add_u32_e32 v33, v31, v10
	v_add_u32_e32 v10, s29, v33
	v_ashrrev_i32_e32 v11, 31, v10
	v_lshlrev_b64 v[10:11], 3, v[10:11]
	v_add_co_u32_e32 v10, vcc, s8, v10
	v_addc_co_u32_e32 v11, vcc, v8, v11, vcc
	v_add_co_u32_e32 v18, vcc, s8, v18
	v_addc_co_u32_e32 v19, vcc, v8, v19, vcc
	;; [unrolled: 2-line block ×3, first 2 shown]
	v_ashrrev_i32_e32 v31, 31, v30
	s_waitcnt vmcnt(0)
	buffer_store_dword v12, off, s[44:47], 0 offset:168 ; 4-byte Folded Spill
	s_nop 0
	buffer_store_dword v13, off, s[44:47], 0 offset:172 ; 4-byte Folded Spill
	global_load_dwordx2 v[12:13], v[16:17], off
	v_add_u32_e32 v16, s19, v25
	v_ashrrev_i32_e32 v17, 31, v16
	v_lshlrev_b64 v[16:17], 3, v[16:17]
	s_waitcnt vmcnt(0)
	buffer_store_dword v12, off, s[44:47], 0 offset:208 ; 4-byte Folded Spill
	s_nop 0
	buffer_store_dword v13, off, s[44:47], 0 offset:212 ; 4-byte Folded Spill
	global_load_dwordx2 v[10:11], v[10:11], off
	s_waitcnt vmcnt(0)
	buffer_store_dword v10, off, s[44:47], 0 offset:184 ; 4-byte Folded Spill
	s_nop 0
	buffer_store_dword v11, off, s[44:47], 0 offset:188 ; 4-byte Folded Spill
	global_load_dwordx2 v[10:11], v[18:19], off
	v_add_u32_e32 v18, s19, v35
	v_ashrrev_i32_e32 v19, 31, v18
	v_lshlrev_b64 v[18:19], 3, v[18:19]
	s_waitcnt vmcnt(0)
	buffer_store_dword v10, off, s[44:47], 0 offset:192 ; 4-byte Folded Spill
	s_nop 0
	buffer_store_dword v11, off, s[44:47], 0 offset:196 ; 4-byte Folded Spill
	global_load_dwordx2 v[10:11], v[26:27], off
	v_add_u32_e32 v26, s19, v36
	v_ashrrev_i32_e32 v27, 31, v26
	v_lshlrev_b64 v[26:27], 3, v[26:27]
	s_waitcnt vmcnt(0)
	buffer_store_dword v10, off, s[44:47], 0 offset:176 ; 4-byte Folded Spill
	s_nop 0
	buffer_store_dword v11, off, s[44:47], 0 offset:180 ; 4-byte Folded Spill
	v_add_u32_e32 v10, s19, v23
	v_ashrrev_i32_e32 v11, 31, v10
	v_lshlrev_b64 v[10:11], 3, v[10:11]
	v_add_co_u32_e32 v10, vcc, s8, v10
	v_addc_co_u32_e32 v11, vcc, v8, v11, vcc
	global_load_dwordx2 v[10:11], v[10:11], off
	v_add_co_u32_e32 v16, vcc, s8, v16
	v_addc_co_u32_e32 v17, vcc, v8, v17, vcc
	v_add_co_u32_e32 v18, vcc, s8, v18
	v_addc_co_u32_e32 v19, vcc, v8, v19, vcc
	v_add_co_u32_e32 v26, vcc, s8, v26
	v_addc_co_u32_e32 v27, vcc, v8, v27, vcc
	s_waitcnt vmcnt(0)
	buffer_store_dword v10, off, s[44:47], 0 offset:224 ; 4-byte Folded Spill
	s_nop 0
	buffer_store_dword v11, off, s[44:47], 0 offset:228 ; 4-byte Folded Spill
	global_load_dwordx2 v[10:11], v[16:17], off
	v_add_u32_e32 v16, s19, v38
	v_ashrrev_i32_e32 v17, 31, v16
	v_lshlrev_b64 v[16:17], 3, v[16:17]
	s_waitcnt vmcnt(0)
	buffer_store_dword v10, off, s[44:47], 0 offset:200 ; 4-byte Folded Spill
	s_nop 0
	buffer_store_dword v11, off, s[44:47], 0 offset:204 ; 4-byte Folded Spill
	global_load_dwordx2 v[10:11], v[18:19], off
	v_add_u32_e32 v18, s19, v39
	v_ashrrev_i32_e32 v19, 31, v18
	v_lshlrev_b64 v[18:19], 3, v[18:19]
	s_waitcnt vmcnt(0)
	buffer_store_dword v10, off, s[44:47], 0 offset:232 ; 4-byte Folded Spill
	s_nop 0
	buffer_store_dword v11, off, s[44:47], 0 offset:236 ; 4-byte Folded Spill
	global_load_dwordx2 v[10:11], v[26:27], off
	v_add_u32_e32 v26, s19, v40
	v_ashrrev_i32_e32 v27, 31, v26
	v_lshlrev_b64 v[26:27], 3, v[26:27]
	s_waitcnt vmcnt(0)
	buffer_store_dword v10, off, s[44:47], 0 offset:216 ; 4-byte Folded Spill
	s_nop 0
	buffer_store_dword v11, off, s[44:47], 0 offset:220 ; 4-byte Folded Spill
	v_add_u32_e32 v10, s19, v37
	v_ashrrev_i32_e32 v11, 31, v10
	v_lshlrev_b64 v[10:11], 3, v[10:11]
	v_add_co_u32_e32 v10, vcc, s8, v10
	v_addc_co_u32_e32 v11, vcc, v8, v11, vcc
	global_load_dwordx2 v[10:11], v[10:11], off
	v_add_co_u32_e32 v16, vcc, s8, v16
	v_addc_co_u32_e32 v17, vcc, v8, v17, vcc
	v_add_co_u32_e32 v18, vcc, s8, v18
	v_addc_co_u32_e32 v19, vcc, v8, v19, vcc
	v_add_co_u32_e32 v26, vcc, s8, v26
	v_addc_co_u32_e32 v27, vcc, v8, v27, vcc
	s_waitcnt vmcnt(0)
	buffer_store_dword v10, off, s[44:47], 0 offset:256 ; 4-byte Folded Spill
	s_nop 0
	buffer_store_dword v11, off, s[44:47], 0 offset:260 ; 4-byte Folded Spill
	global_load_dwordx2 v[10:11], v[16:17], off
	v_add_u32_e32 v16, s19, v42
	v_ashrrev_i32_e32 v17, 31, v16
	v_lshlrev_b64 v[16:17], 3, v[16:17]
	;; [unrolled: 40-line block ×3, first 2 shown]
	s_waitcnt vmcnt(0)
	buffer_store_dword v10, off, s[44:47], 0 offset:272 ; 4-byte Folded Spill
	s_nop 0
	buffer_store_dword v11, off, s[44:47], 0 offset:276 ; 4-byte Folded Spill
	global_load_dwordx2 v[10:11], v[18:19], off
	v_add_u32_e32 v18, s19, v9
	v_ashrrev_i32_e32 v19, 31, v18
	v_lshlrev_b64 v[18:19], 3, v[18:19]
	s_waitcnt vmcnt(0)
	buffer_store_dword v10, off, s[44:47], 0 offset:296 ; 4-byte Folded Spill
	s_nop 0
	buffer_store_dword v11, off, s[44:47], 0 offset:300 ; 4-byte Folded Spill
	global_load_dwordx2 v[10:11], v[26:27], off
	s_waitcnt vmcnt(0)
	buffer_store_dword v10, off, s[44:47], 0 offset:280 ; 4-byte Folded Spill
	s_nop 0
	buffer_store_dword v11, off, s[44:47], 0 offset:284 ; 4-byte Folded Spill
	v_add_u32_e32 v10, s19, v32
	v_ashrrev_i32_e32 v11, 31, v10
	v_lshlrev_b64 v[10:11], 3, v[10:11]
	v_add_co_u32_e32 v10, vcc, s8, v10
	v_addc_co_u32_e32 v11, vcc, v8, v11, vcc
	v_add_co_u32_e32 v16, vcc, s8, v16
	v_addc_co_u32_e32 v17, vcc, v8, v17, vcc
	;; [unrolled: 2-line block ×3, first 2 shown]
	global_load_dwordx2 v[28:29], v[10:11], off
	global_load_dwordx2 v[8:9], v[16:17], off
	v_mov_b32_e32 v32, v60
	s_waitcnt vmcnt(0)
	buffer_store_dword v8, off, s[44:47], 0 offset:304 ; 4-byte Folded Spill
	s_nop 0
	buffer_store_dword v9, off, s[44:47], 0 offset:308 ; 4-byte Folded Spill
	global_load_dwordx2 v[14:15], v[18:19], off
.LBB4_7:                                ; =>This Inner Loop Header: Depth=1
	v_ashrrev_i32_e32 v33, 31, v32
	v_lshlrev_b64 v[8:9], 3, v[32:33]
	v_add_co_u32_e32 v8, vcc, s6, v8
	v_mov_b32_e32 v10, s7
	v_addc_co_u32_e32 v9, vcc, v10, v9, vcc
	s_ashr_i32 s24, s0, 31
	global_load_dwordx2 v[34:35], v[8:9], off
	v_add_co_u32_e32 v16, vcc, s0, v30
	v_mov_b32_e32 v8, s24
	v_addc_co_u32_e32 v17, vcc, v8, v31, vcc
	v_add_co_u32_e32 v8, vcc, s19, v16
	v_mov_b32_e32 v9, s28
	v_addc_co_u32_e32 v9, vcc, v17, v9, vcc
	v_lshlrev_b64 v[8:9], 3, v[8:9]
	v_add_co_u32_e32 v36, vcc, s8, v8
	v_mov_b32_e32 v18, s9
	v_addc_co_u32_e32 v37, vcc, v18, v9, vcc
	global_load_dwordx4 v[24:27], v[36:37], off offset:-16
	v_add_co_u32_e32 v8, vcc, s29, v16
	v_mov_b32_e32 v9, s31
	v_addc_co_u32_e32 v9, vcc, v17, v9, vcc
	v_lshlrev_b64 v[8:9], 3, v[8:9]
	s_add_i32 s1, s1, 1
	s_add_i32 s0, s0, s20
	v_add_u32_e32 v32, -6, v32
	s_cmp_ge_i32 s1, s21
	s_waitcnt vmcnt(0)
	v_fma_f64 v[76:77], -v[34:35], v[24:25], v[76:77]
	v_add_co_u32_e32 v24, vcc, s8, v8
	v_addc_co_u32_e32 v25, vcc, v18, v9, vcc
	global_load_dwordx4 v[8:11], v[24:25], off offset:-16
	v_fma_f64 v[66:67], -v[34:35], v[26:27], v[66:67]
	s_waitcnt vmcnt(0)
	v_fma_f64 v[122:123], -v[34:35], v[8:9], v[122:123]
	v_add_co_u32_e32 v8, vcc, s34, v16
	v_mov_b32_e32 v9, s35
	v_addc_co_u32_e32 v9, vcc, v17, v9, vcc
	v_lshlrev_b64 v[8:9], 3, v[8:9]
	v_add_co_u32_e32 v38, vcc, s8, v8
	v_addc_co_u32_e32 v39, vcc, v18, v9, vcc
	global_load_dwordx4 v[16:19], v[38:39], off offset:-16
	v_fma_f64 v[52:53], -v[34:35], v[10:11], v[52:53]
	global_load_dwordx4 v[8:11], v[36:37], off offset:8
	s_waitcnt vmcnt(1)
	v_fma_f64 v[84:85], -v[34:35], v[16:17], v[84:85]
	v_fma_f64 v[62:63], -v[34:35], v[18:19], v[62:63]
	global_load_dwordx4 v[16:19], v[24:25], off offset:8
	s_waitcnt vmcnt(1)
	v_fma_f64 v[92:93], -v[34:35], v[10:11], v[92:93]
	global_load_dwordx4 v[24:27], v[38:39], off offset:8
	v_fma_f64 v[102:103], -v[34:35], v[8:9], v[102:103]
	s_waitcnt vmcnt(1)
	v_fma_f64 v[96:97], -v[34:35], v[18:19], v[96:97]
	v_fma_f64 v[58:59], -v[34:35], v[16:17], v[58:59]
	s_waitcnt vmcnt(0)
	v_fma_f64 v[94:95], -v[34:35], v[26:27], v[94:95]
	v_fma_f64 v[110:111], -v[34:35], v[24:25], v[110:111]
	s_cbranch_scc0 .LBB4_7
; %bb.8:
	buffer_load_dword v8, off, s[44:47], 0  ; 4-byte Folded Reload
	buffer_load_dword v9, off, s[44:47], 0 offset:4 ; 4-byte Folded Reload
	v_mov_b32_e32 v18, s15
	s_lshl_b32 s0, s19, 2
	s_ashr_i32 s1, s0, 31
	v_mov_b32_e32 v17, s1
	v_add_u32_e32 v21, -2, v21
	s_mul_i32 s1, s23, 3
	v_add_u32_e32 v20, -2, v20
	v_mul_lo_u32 v21, v21, s18
	s_lshl_b32 s19, s22, 2
	v_mul_lo_u32 v20, v20, s18
	v_add_u32_e32 v38, v98, v21
	v_add_u32_e32 v37, v98, v20
	;; [unrolled: 1-line block ×3, first 2 shown]
	v_subrev_u32_e32 v39, s19, v39
	v_add_u32_e32 v90, 3, v39
	v_subrev_u32_e32 v44, s22, v37
	v_subrev_u32_e32 v45, s22, v38
	v_pk_mov_b32 v[118:119], 0, 0
	v_mov_b32_e32 v124, v60
	v_mov_b32_e32 v57, v90
	v_pk_mov_b32 v[108:109], v[118:119], v[118:119] op_sel:[0,1]
	v_pk_mov_b32 v[116:117], v[118:119], v[118:119] op_sel:[0,1]
	;; [unrolled: 1-line block ×6, first 2 shown]
	s_waitcnt vmcnt(1)
	v_add_co_u32_e32 v8, vcc, s14, v8
	s_waitcnt vmcnt(0)
	v_addc_co_u32_e32 v9, vcc, v18, v9, vcc
	v_add_co_u32_e32 v10, vcc, s14, v88
	buffer_store_dword v88, off, s[44:47], 0 offset:320 ; 4-byte Folded Spill
	s_nop 0
	buffer_store_dword v89, off, s[44:47], 0 offset:324 ; 4-byte Folded Spill
	global_load_dwordx4 v[22:25], v[8:9], off offset:8
	s_waitcnt vmcnt(0)
	buffer_store_dword v22, off, s[44:47], 0 offset:840 ; 4-byte Folded Spill
	s_nop 0
	buffer_store_dword v23, off, s[44:47], 0 offset:844 ; 4-byte Folded Spill
	buffer_store_dword v24, off, s[44:47], 0 offset:848 ; 4-byte Folded Spill
	;; [unrolled: 1-line block ×3, first 2 shown]
	v_addc_co_u32_e32 v11, vcc, v18, v89, vcc
	v_add_co_u32_e32 v16, vcc, s0, v114
	v_addc_co_u32_e32 v17, vcc, v113, v17, vcc
	v_lshlrev_b64 v[16:17], 3, v[16:17]
	v_add_co_u32_e32 v16, vcc, s14, v16
	v_addc_co_u32_e32 v17, vcc, v18, v17, vcc
	global_load_dwordx4 v[40:43], v[8:9], off offset:-16
	global_load_dwordx4 v[78:81], v[10:11], off offset:8
	s_nop 0
	global_load_dwordx4 v[8:11], v[10:11], off offset:-16
	s_nop 0
	global_load_dwordx4 v[22:25], v[16:17], off offset:8
	v_pk_mov_b32 v[114:115], v[118:119], v[118:119] op_sel:[0,1]
	v_pk_mov_b32 v[112:113], v[118:119], v[118:119] op_sel:[0,1]
	;; [unrolled: 1-line block ×3, first 2 shown]
	s_waitcnt vmcnt(0)
	buffer_store_dword v22, off, s[44:47], 0 offset:856 ; 4-byte Folded Spill
	s_nop 0
	buffer_store_dword v23, off, s[44:47], 0 offset:860 ; 4-byte Folded Spill
	buffer_store_dword v24, off, s[44:47], 0 offset:864 ; 4-byte Folded Spill
	buffer_store_dword v25, off, s[44:47], 0 offset:868 ; 4-byte Folded Spill
	buffer_load_dword v12, off, s[44:47], 0 offset:740 ; 4-byte Folded Reload
	v_add_u32_e32 v22, -2, v70
	global_load_dwordx4 v[16:19], v[16:17], off offset:-16
	v_mul_lo_u32 v22, v22, s18
	v_add_u32_e32 v23, v98, v22
	v_add_u32_e32 v36, s1, v23
	v_subrev_u32_e32 v36, s19, v36
	v_add_u32_e32 v68, 3, v36
	v_add_u32_e32 v36, s1, v37
	s_lshl_b32 s1, s23, 2
	v_add_u32_e32 v39, s1, v23
	s_mul_i32 s18, s22, 5
	v_subrev_u32_e32 v39, s18, v39
	v_add_u32_e32 v56, 4, v39
	v_add_u32_e32 v39, s1, v37
	v_subrev_u32_e32 v39, s18, v39
	v_add_u32_e32 v106, 4, v39
	v_add_u32_e32 v39, s1, v38
	s_add_i32 s1, s17, s16
	v_subrev_u32_e32 v39, s18, v39
	s_add_i32 s1, s1, s23
	v_add_u32_e32 v54, 4, v39
	v_subrev_u32_e32 v36, s19, v36
	v_add_u32_e32 v36, 3, v36
	v_subrev_u32_e32 v49, s22, v23
	v_mov_b32_e32 v86, v49
	v_mov_b32_e32 v107, v54
	;; [unrolled: 1-line block ×6, first 2 shown]
	v_pk_mov_b32 v[70:71], v[118:119], v[118:119] op_sel:[0,1]
	v_pk_mov_b32 v[98:99], v[118:119], v[118:119] op_sel:[0,1]
	s_waitcnt vmcnt(1)
	v_add_u32_e32 v39, s1, v12
	s_lshl_b32 s1, s22, 1
	v_add_u32_e32 v20, v39, v20
	v_subrev_u32_e32 v20, s1, v20
	v_add_u32_e32 v22, v39, v22
	v_add_u32_e32 v51, 1, v20
	;; [unrolled: 1-line block ×3, first 2 shown]
	v_subrev_u32_e32 v22, s1, v22
	v_subrev_u32_e32 v20, s1, v20
	v_add_u32_e32 v50, 1, v22
	v_add_u32_e32 v48, 1, v20
	v_mov_b32_e32 v20, v45
	v_mov_b32_e32 v21, v44
	;; [unrolled: 1-line block ×5, first 2 shown]
	s_mov_b32 s1, s30
.LBB4_9:                                ; =>This Inner Loop Header: Depth=1
	v_ashrrev_i32_e32 v125, 31, v124
	v_lshlrev_b64 v[38:39], 3, v[124:125]
	v_add_co_u32_e32 v38, vcc, s6, v38
	v_mov_b32_e32 v22, s7
	v_addc_co_u32_e32 v39, vcc, v22, v39, vcc
	global_load_dwordx2 v[64:65], v[38:39], off
	v_add_u32_e32 v38, s33, v20
	v_ashrrev_i32_e32 v39, 31, v38
	v_lshlrev_b64 v[38:39], 3, v[38:39]
	v_add_co_u32_e32 v22, vcc, s8, v38
	v_mov_b32_e32 v38, s9
	v_addc_co_u32_e32 v23, vcc, v38, v39, vcc
	global_load_dwordx2 v[22:23], v[22:23], off
	s_add_i32 s1, s1, 1
	v_add_u32_e32 v20, s20, v20
	v_add_u32_e32 v124, -6, v124
	s_cmp_ge_i32 s1, s21
	s_waitcnt vmcnt(0)
	v_fma_f64 v[100:101], -v[64:65], v[22:23], v[100:101]
	v_add_u32_e32 v22, s33, v86
	v_ashrrev_i32_e32 v23, 31, v22
	v_lshlrev_b64 v[22:23], 3, v[22:23]
	v_add_co_u32_e32 v22, vcc, s8, v22
	v_addc_co_u32_e32 v23, vcc, v38, v23, vcc
	global_load_dwordx2 v[22:23], v[22:23], off
	v_add_u32_e32 v86, s20, v86
	s_waitcnt vmcnt(0)
	v_fma_f64 v[72:73], -v[64:65], v[22:23], v[72:73]
	v_add_u32_e32 v22, s33, v21
	v_ashrrev_i32_e32 v23, 31, v22
	v_lshlrev_b64 v[22:23], 3, v[22:23]
	v_add_co_u32_e32 v22, vcc, s8, v22
	v_addc_co_u32_e32 v23, vcc, v38, v23, vcc
	global_load_dwordx2 v[22:23], v[22:23], off
	v_add_u32_e32 v21, s20, v21
	;; [unrolled: 9-line block ×11, first 2 shown]
	s_waitcnt vmcnt(0)
	v_fma_f64 v[108:109], -v[64:65], v[22:23], v[108:109]
	s_cbranch_scc0 .LBB4_9
; %bb.10:
	buffer_load_dword v12, off, s[44:47], 0 offset:104 ; 4-byte Folded Reload
	buffer_load_dword v13, off, s[44:47], 0 offset:108 ; 4-byte Folded Reload
	;; [unrolled: 1-line block ×4, first 2 shown]
	s_mov_b32 s16, 0x55555555
	s_mov_b32 s17, 0x3fb55555
	;; [unrolled: 1-line block ×4, first 2 shown]
	v_mov_b32_e32 v37, s15
	s_waitcnt vmcnt(0)
	v_add_f64 v[20:21], v[20:21], -v[12:13]
	buffer_load_dword v12, off, s[44:47], 0 offset:96 ; 4-byte Folded Reload
	buffer_load_dword v13, off, s[44:47], 0 offset:100 ; 4-byte Folded Reload
	;; [unrolled: 1-line block ×4, first 2 shown]
	v_mul_f64 v[20:21], v[20:21], s[16:17]
	s_waitcnt vmcnt(0)
	v_add_f64 v[38:39], v[22:23], -v[12:13]
	buffer_load_dword v12, off, s[44:47], 0 offset:128 ; 4-byte Folded Reload
	buffer_load_dword v13, off, s[44:47], 0 offset:132 ; 4-byte Folded Reload
	buffer_load_dword v22, off, s[44:47], 0 offset:88 ; 4-byte Folded Reload
	buffer_load_dword v23, off, s[44:47], 0 offset:92 ; 4-byte Folded Reload
	v_fma_f64 v[20:21], v[38:39], s[18:19], -v[20:21]
	s_waitcnt vmcnt(0)
	v_add_f64 v[38:39], v[22:23], -v[12:13]
	buffer_load_dword v12, off, s[44:47], 0 offset:136 ; 4-byte Folded Reload
	buffer_load_dword v13, off, s[44:47], 0 offset:140 ; 4-byte Folded Reload
	;; [unrolled: 1-line block ×4, first 2 shown]
	v_mul_f64 v[38:39], v[38:39], s[16:17]
	s_waitcnt vmcnt(0)
	v_add_f64 v[64:65], v[22:23], -v[12:13]
	buffer_load_dword v12, off, s[44:47], 0 offset:724 ; 4-byte Folded Reload
	buffer_load_dword v13, off, s[44:47], 0 offset:728 ; 4-byte Folded Reload
	v_fma_f64 v[38:39], v[64:65], s[18:19], -v[38:39]
	s_waitcnt vmcnt(0)
	v_mul_f64 v[38:39], v[12:13], v[38:39]
	buffer_load_dword v12, off, s[44:47], 0 offset:732 ; 4-byte Folded Reload
	buffer_load_dword v13, off, s[44:47], 0 offset:736 ; 4-byte Folded Reload
	s_waitcnt vmcnt(0)
	v_fma_f64 v[12:13], v[12:13], v[20:21], -v[38:39]
	buffer_store_dword v12, off, s[44:47], 0 offset:724 ; 4-byte Folded Spill
	s_nop 0
	buffer_store_dword v13, off, s[44:47], 0 offset:728 ; 4-byte Folded Spill
	buffer_load_dword v12, off, s[44:47], 0 offset:152 ; 4-byte Folded Reload
	s_nop 0
	buffer_load_dword v13, off, s[44:47], 0 offset:156 ; 4-byte Folded Reload
	buffer_load_dword v20, off, s[44:47], 0 offset:120 ; 4-byte Folded Reload
	;; [unrolled: 1-line block ×3, first 2 shown]
	s_waitcnt vmcnt(0)
	v_add_f64 v[20:21], v[20:21], -v[12:13]
	buffer_load_dword v12, off, s[44:47], 0 offset:160 ; 4-byte Folded Reload
	buffer_load_dword v13, off, s[44:47], 0 offset:164 ; 4-byte Folded Reload
	;; [unrolled: 1-line block ×4, first 2 shown]
	v_mul_f64 v[20:21], v[20:21], s[16:17]
	s_waitcnt vmcnt(0)
	v_add_f64 v[38:39], v[22:23], -v[12:13]
	buffer_load_dword v12, off, s[44:47], 0 offset:208 ; 4-byte Folded Reload
	buffer_load_dword v13, off, s[44:47], 0 offset:212 ; 4-byte Folded Reload
	;; [unrolled: 1-line block ×4, first 2 shown]
	v_fma_f64 v[20:21], v[38:39], s[18:19], -v[20:21]
	s_waitcnt vmcnt(0)
	v_add_f64 v[38:39], v[22:23], -v[12:13]
	buffer_load_dword v12, off, s[44:47], 0 offset:192 ; 4-byte Folded Reload
	buffer_load_dword v13, off, s[44:47], 0 offset:196 ; 4-byte Folded Reload
	;; [unrolled: 1-line block ×4, first 2 shown]
	v_mul_f64 v[38:39], v[38:39], s[16:17]
	s_waitcnt vmcnt(0)
	v_add_f64 v[64:65], v[22:23], -v[12:13]
	buffer_load_dword v12, off, s[44:47], 0 offset:708 ; 4-byte Folded Reload
	buffer_load_dword v13, off, s[44:47], 0 offset:712 ; 4-byte Folded Reload
	v_fma_f64 v[38:39], v[64:65], s[18:19], -v[38:39]
	s_waitcnt vmcnt(0)
	v_mul_f64 v[38:39], v[12:13], v[38:39]
	buffer_load_dword v12, off, s[44:47], 0 offset:716 ; 4-byte Folded Reload
	buffer_load_dword v13, off, s[44:47], 0 offset:720 ; 4-byte Folded Reload
	s_waitcnt vmcnt(0)
	v_fma_f64 v[12:13], v[12:13], v[20:21], -v[38:39]
	buffer_store_dword v12, off, s[44:47], 0 offset:708 ; 4-byte Folded Spill
	s_nop 0
	buffer_store_dword v13, off, s[44:47], 0 offset:712 ; 4-byte Folded Spill
	buffer_load_dword v12, off, s[44:47], 0 offset:224 ; 4-byte Folded Reload
	s_nop 0
	buffer_load_dword v13, off, s[44:47], 0 offset:228 ; 4-byte Folded Reload
	buffer_load_dword v20, off, s[44:47], 0 offset:176 ; 4-byte Folded Reload
	;; [unrolled: 1-line block ×3, first 2 shown]
	s_waitcnt vmcnt(0)
	v_add_f64 v[20:21], v[20:21], -v[12:13]
	buffer_load_dword v12, off, s[44:47], 0 offset:232 ; 4-byte Folded Reload
	buffer_load_dword v13, off, s[44:47], 0 offset:236 ; 4-byte Folded Reload
	;; [unrolled: 1-line block ×4, first 2 shown]
	v_mul_f64 v[20:21], v[20:21], s[16:17]
	s_waitcnt vmcnt(0)
	v_add_f64 v[38:39], v[22:23], -v[12:13]
	buffer_load_dword v12, off, s[44:47], 0 offset:256 ; 4-byte Folded Reload
	buffer_load_dword v13, off, s[44:47], 0 offset:260 ; 4-byte Folded Reload
	buffer_load_dword v22, off, s[44:47], 0 offset:216 ; 4-byte Folded Reload
	buffer_load_dword v23, off, s[44:47], 0 offset:220 ; 4-byte Folded Reload
	v_fma_f64 v[20:21], v[38:39], s[18:19], -v[20:21]
	s_waitcnt vmcnt(0)
	v_add_f64 v[38:39], v[22:23], -v[12:13]
	buffer_load_dword v12, off, s[44:47], 0 offset:264 ; 4-byte Folded Reload
	buffer_load_dword v13, off, s[44:47], 0 offset:268 ; 4-byte Folded Reload
	;; [unrolled: 1-line block ×4, first 2 shown]
	v_mul_f64 v[38:39], v[38:39], s[16:17]
	s_waitcnt vmcnt(0)
	v_add_f64 v[64:65], v[22:23], -v[12:13]
	buffer_load_dword v12, off, s[44:47], 0 offset:16 ; 4-byte Folded Reload
	buffer_load_dword v13, off, s[44:47], 0 offset:20 ; 4-byte Folded Reload
	;; [unrolled: 1-line block ×4, first 2 shown]
	v_fma_f64 v[38:39], v[64:65], s[18:19], -v[38:39]
	s_waitcnt vmcnt(0)
	v_mul_f64 v[64:65], v[12:13], v[22:23]
	v_mul_f64 v[64:65], v[12:13], v[64:65]
	buffer_load_dword v12, off, s[44:47], 0 offset:56 ; 4-byte Folded Reload
	buffer_load_dword v13, off, s[44:47], 0 offset:60 ; 4-byte Folded Reload
	;; [unrolled: 1-line block ×4, first 2 shown]
	v_mul_f64 v[38:39], v[64:65], v[38:39]
	s_waitcnt vmcnt(0)
	v_mul_f64 v[64:65], v[12:13], v[22:23]
	v_mul_f64 v[64:65], v[12:13], v[64:65]
	v_fma_f64 v[12:13], v[64:65], v[20:21], -v[38:39]
	buffer_store_dword v12, off, s[44:47], 0 offset:716 ; 4-byte Folded Spill
	s_nop 0
	buffer_store_dword v13, off, s[44:47], 0 offset:720 ; 4-byte Folded Spill
	buffer_load_dword v12, off, s[44:47], 0 offset:288 ; 4-byte Folded Reload
	s_nop 0
	buffer_load_dword v13, off, s[44:47], 0 offset:292 ; 4-byte Folded Reload
	buffer_load_dword v20, off, s[44:47], 0 offset:248 ; 4-byte Folded Reload
	;; [unrolled: 1-line block ×3, first 2 shown]
	s_waitcnt vmcnt(0)
	v_add_f64 v[20:21], v[20:21], -v[12:13]
	buffer_load_dword v12, off, s[44:47], 0 offset:296 ; 4-byte Folded Reload
	buffer_load_dword v13, off, s[44:47], 0 offset:300 ; 4-byte Folded Reload
	;; [unrolled: 1-line block ×4, first 2 shown]
	s_nop 0
	buffer_store_dword v28, off, s[44:47], 0 offset:896 ; 4-byte Folded Spill
	s_nop 0
	buffer_store_dword v29, off, s[44:47], 0 offset:900 ; 4-byte Folded Spill
	v_mul_f64 v[20:21], v[20:21], s[16:17]
	s_waitcnt vmcnt(2)
	v_add_f64 v[38:39], v[22:23], -v[12:13]
	buffer_load_dword v12, off, s[44:47], 0 offset:280 ; 4-byte Folded Reload
	buffer_load_dword v13, off, s[44:47], 0 offset:284 ; 4-byte Folded Reload
	s_nop 0
	buffer_store_dword v14, off, s[44:47], 0 offset:888 ; 4-byte Folded Spill
	s_nop 0
	buffer_store_dword v15, off, s[44:47], 0 offset:892 ; 4-byte Folded Spill
	v_fma_f64 v[20:21], v[38:39], s[18:19], -v[20:21]
	s_waitcnt vmcnt(2)
	v_add_f64 v[38:39], v[12:13], -v[28:29]
	buffer_load_dword v12, off, s[44:47], 0 offset:304 ; 4-byte Folded Reload
	buffer_load_dword v13, off, s[44:47], 0 offset:308 ; 4-byte Folded Reload
	v_mul_f64 v[38:39], v[38:39], s[16:17]
	s_waitcnt vmcnt(0)
	v_add_f64 v[64:65], v[12:13], -v[14:15]
	buffer_load_dword v12, off, s[44:47], 0 offset:8 ; 4-byte Folded Reload
	buffer_load_dword v13, off, s[44:47], 0 offset:12 ; 4-byte Folded Reload
	;; [unrolled: 1-line block ×4, first 2 shown]
	v_fma_f64 v[38:39], v[64:65], s[18:19], -v[38:39]
	s_waitcnt vmcnt(0)
	v_mul_f64 v[64:65], v[12:13], v[14:15]
	v_mul_f64 v[64:65], v[12:13], v[64:65]
	buffer_load_dword v12, off, s[44:47], 0 offset:24 ; 4-byte Folded Reload
	buffer_load_dword v13, off, s[44:47], 0 offset:28 ; 4-byte Folded Reload
	;; [unrolled: 1-line block ×4, first 2 shown]
	v_mul_f64 v[38:39], v[64:65], v[38:39]
	s_waitcnt vmcnt(0)
	v_mul_f64 v[64:65], v[12:13], v[14:15]
	v_mul_f64 v[64:65], v[12:13], v[64:65]
	v_fma_f64 v[12:13], v[64:65], v[20:21], -v[38:39]
	buffer_store_dword v12, off, s[44:47], 0 offset:732 ; 4-byte Folded Spill
	s_nop 0
	buffer_store_dword v13, off, s[44:47], 0 offset:736 ; 4-byte Folded Spill
	buffer_load_dword v12, off, s[44:47], 0 offset:700 ; 4-byte Folded Reload
	s_nop 0
	buffer_load_dword v13, off, s[44:47], 0 offset:704 ; 4-byte Folded Reload
	buffer_load_dword v24, off, s[44:47], 0 offset:500 ; 4-byte Folded Reload
	;; [unrolled: 1-line block ×5, first 2 shown]
	s_waitcnt vmcnt(4)
	v_mul_f64 v[20:21], v[12:13], v[40:41]
	buffer_load_dword v12, off, s[44:47], 0 offset:596 ; 4-byte Folded Reload
	buffer_load_dword v13, off, s[44:47], 0 offset:600 ; 4-byte Folded Reload
	;; [unrolled: 1-line block ×6, first 2 shown]
	s_waitcnt vmcnt(8)
	v_mul_f64 v[20:21], v[24:25], v[20:21]
	s_waitcnt vmcnt(4)
	v_mul_f64 v[20:21], v[12:13], v[20:21]
	;; [unrolled: 2-line block ×3, first 2 shown]
	v_mul_f64 v[38:39], v[24:25], v[38:39]
	v_mul_f64 v[38:39], v[122:123], v[38:39]
	;; [unrolled: 1-line block ×3, first 2 shown]
	v_fmac_f64_e32 v[86:87], v[76:77], v[20:21]
	v_mul_f64 v[20:21], v[28:29], v[16:17]
	v_mul_f64 v[20:21], v[24:25], v[20:21]
	v_fmac_f64_e32 v[86:87], v[84:85], v[20:21]
	buffer_load_dword v20, off, s[44:47], 0 offset:676 ; 4-byte Folded Reload
	buffer_load_dword v21, off, s[44:47], 0 offset:680 ; 4-byte Folded Reload
	buffer_load_dword v64, off, s[44:47], 0 offset:460 ; 4-byte Folded Reload
	buffer_load_dword v65, off, s[44:47], 0 offset:464 ; 4-byte Folded Reload
	buffer_load_dword v22, off, s[44:47], 0 offset:564 ; 4-byte Folded Reload
	buffer_load_dword v23, off, s[44:47], 0 offset:568 ; 4-byte Folded Reload
	buffer_load_dword v30, off, s[44:47], 0 offset:588 ; 4-byte Folded Reload
	buffer_load_dword v31, off, s[44:47], 0 offset:592 ; 4-byte Folded Reload
	s_waitcnt vmcnt(6)
	v_mul_f64 v[20:21], v[20:21], v[42:43]
	s_waitcnt vmcnt(4)
	v_mul_f64 v[38:39], v[64:65], v[10:11]
	v_mul_f64 v[38:39], v[26:27], v[38:39]
	v_mul_f64 v[20:21], v[26:27], v[20:21]
	v_mul_f64 v[38:39], v[52:53], v[38:39]
	v_mul_f64 v[20:21], v[14:15], v[20:21]
	v_mul_f64 v[104:105], v[4:5], v[38:39]
	v_fmac_f64_e32 v[104:105], v[66:67], v[20:21]
	s_waitcnt vmcnt(2)
	v_mul_f64 v[20:21], v[22:23], v[40:41]
	s_waitcnt vmcnt(0)
	v_mul_f64 v[40:41], v[30:31], v[42:43]
	v_mul_f64 v[42:43], v[30:31], v[18:19]
	;; [unrolled: 1-line block ×4, first 2 shown]
	v_fmac_f64_e32 v[104:105], v[62:63], v[18:19]
	v_mul_f64 v[18:19], v[24:25], v[20:21]
	v_mul_f64 v[20:21], v[122:123], v[18:19]
	buffer_load_dword v122, off, s[44:47], 0 offset:336 ; 4-byte Folded Reload
	buffer_load_dword v123, off, s[44:47], 0 offset:340 ; 4-byte Folded Reload
	v_mul_f64 v[8:9], v[22:23], v[8:9]
	v_mul_f64 v[20:21], v[12:13], v[20:21]
	;; [unrolled: 1-line block ×6, first 2 shown]
	s_waitcnt vmcnt(0)
	v_mul_f64 v[124:125], v[122:123], v[20:21]
	v_fmac_f64_e32 v[124:125], v[76:77], v[8:9]
	v_mul_f64 v[8:9], v[24:25], v[16:17]
	v_mul_f64 v[8:9], v[76:77], v[8:9]
	;; [unrolled: 1-line block ×3, first 2 shown]
	v_fmac_f64_e32 v[8:9], v[12:13], v[16:17]
	v_mul_f64 v[16:17], v[26:27], v[40:41]
	v_mul_f64 v[20:21], v[26:27], v[42:43]
	v_mul_f64 v[18:19], v[52:53], v[16:17]
	v_mul_f64 v[16:17], v[62:63], v[16:17]
	v_mul_f64 v[20:21], v[66:67], v[20:21]
	buffer_store_dword v8, off, s[44:47], 0 offset:564 ; 4-byte Folded Spill
	s_nop 0
	buffer_store_dword v9, off, s[44:47], 0 offset:568 ; 4-byte Folded Spill
	v_fmac_f64_e32 v[20:21], v[14:15], v[16:17]
	v_mul_f64 v[16:17], v[14:15], v[18:19]
	v_mul_f64 v[8:9], v[122:123], v[16:17]
	v_fmac_f64_e32 v[8:9], v[66:67], v[10:11]
	buffer_load_dword v10, off, s[44:47], 0 offset:620 ; 4-byte Folded Reload
	buffer_load_dword v11, off, s[44:47], 0 offset:624 ; 4-byte Folded Reload
	;; [unrolled: 1-line block ×12, first 2 shown]
	v_pk_mov_b32 v[38:39], v[78:79], v[78:79] op_sel:[0,1]
	v_pk_mov_b32 v[40:41], v[80:81], v[80:81] op_sel:[0,1]
	v_mul_f64 v[62:63], v[46:47], v[46:47]
	s_waitcnt vmcnt(6)
	v_mul_f64 v[10:11], v[10:11], v[34:35]
	s_waitcnt vmcnt(4)
	;; [unrolled: 2-line block ×4, first 2 shown]
	v_mul_f64 v[16:17], v[12:13], v[80:81]
	buffer_load_dword v78, off, s[44:47], 0 offset:856 ; 4-byte Folded Reload
	buffer_load_dword v79, off, s[44:47], 0 offset:860 ; 4-byte Folded Reload
	;; [unrolled: 1-line block ×6, first 2 shown]
	v_mul_f64 v[16:17], v[14:15], v[16:17]
	v_mul_f64 v[16:17], v[96:97], v[16:17]
	v_mul_f64 v[42:43], v[4:5], v[16:17]
	v_fmac_f64_e32 v[42:43], v[92:93], v[10:11]
	s_waitcnt vmcnt(2)
	v_mul_f64 v[10:11], v[12:13], v[80:81]
	s_waitcnt vmcnt(0)
	v_mul_f64 v[16:17], v[22:23], v[34:35]
	v_mul_f64 v[16:17], v[14:15], v[16:17]
	;; [unrolled: 1-line block ×4, first 2 shown]
	v_fmac_f64_e32 v[42:43], v[94:95], v[10:11]
	v_mul_f64 v[10:11], v[22:23], v[40:41]
	v_mul_f64 v[18:19], v[30:31], v[18:19]
	;; [unrolled: 1-line block ×4, first 2 shown]
	v_fmac_f64_e32 v[34:35], v[92:93], v[10:11]
	v_mul_f64 v[10:11], v[22:23], v[80:81]
	buffer_load_dword v22, off, s[44:47], 0 offset:784 ; 4-byte Folded Reload
	buffer_load_dword v23, off, s[44:47], 0 offset:788 ; 4-byte Folded Reload
	;; [unrolled: 1-line block ×8, first 2 shown]
	v_mul_f64 v[10:11], v[14:15], v[10:11]
	v_mul_f64 v[92:93], v[92:93], v[10:11]
	;; [unrolled: 1-line block ×3, first 2 shown]
	v_fmac_f64_e32 v[92:93], v[30:31], v[10:11]
	s_waitcnt vmcnt(4)
	v_fma_f64 v[10:11], 2.0, v[22:23], v[66:67]
	s_waitcnt vmcnt(2)
	v_mul_f64 v[52:53], v[0:1], v[84:85]
	s_waitcnt vmcnt(0)
	v_mul_f64 v[18:19], v[4:5], v[76:77]
	v_mul_f64 v[18:19], v[76:77], v[18:19]
	;; [unrolled: 1-line block ×4, first 2 shown]
	v_fma_f64 v[30:31], v[46:47], v[46:47], v[18:19]
	v_fmac_f64_e32 v[62:63], v[0:1], v[52:53]
	v_fmac_f64_e32 v[18:19], v[0:1], v[52:53]
	buffer_load_dword v52, off, s[44:47], 0 offset:776 ; 4-byte Folded Reload
	buffer_load_dword v53, off, s[44:47], 0 offset:780 ; 4-byte Folded Reload
	v_mul_f64 v[16:17], v[10:11], v[84:85]
	v_mul_f64 v[16:17], v[0:1], v[16:17]
	;; [unrolled: 1-line block ×4, first 2 shown]
	v_fmac_f64_e32 v[30:31], v[0:1], v[16:17]
	v_mul_f64 v[16:17], v[10:11], v[76:77]
	v_mul_f64 v[16:17], v[4:5], v[16:17]
	v_mul_f64 v[16:17], v[76:77], v[16:17]
	v_mul_f64 v[62:63], v[22:23], v[62:63]
	v_fmac_f64_e32 v[62:63], v[4:5], v[16:17]
	v_add_f64 v[16:17], v[22:23], v[66:67]
	v_mul_f64 v[18:19], v[22:23], v[18:19]
	v_mul_f64 v[10:11], v[10:11], v[46:47]
	v_fmac_f64_e32 v[18:19], v[46:47], v[10:11]
	s_waitcnt vmcnt(0)
	v_mul_f64 v[10:11], v[52:53], v[16:17]
	v_mul_f64 v[16:17], v[84:85], v[10:11]
	v_mul_f64 v[10:11], v[10:11], v[76:77]
	v_mul_f64 v[22:23], v[76:77], v[16:17]
	v_mul_f64 v[16:17], v[16:17], v[46:47]
	v_mul_f64 v[10:11], v[10:11], v[46:47]
	v_mul_f64 v[46:47], v[52:53], v[62:63]
	buffer_load_dword v62, off, s[44:47], 0 offset:824 ; 4-byte Folded Reload
	buffer_load_dword v63, off, s[44:47], 0 offset:828 ; 4-byte Folded Reload
	;; [unrolled: 1-line block ×6, first 2 shown]
	v_mul_f64 v[30:31], v[52:53], v[30:31]
	v_mul_f64 v[30:31], v[120:121], v[30:31]
	;; [unrolled: 1-line block ×4, first 2 shown]
	s_waitcnt vmcnt(4)
	v_mul_f64 v[30:31], v[62:63], v[30:31]
	s_waitcnt vmcnt(2)
	v_mul_f64 v[46:47], v[66:67], v[46:47]
	;; [unrolled: 2-line block ×3, first 2 shown]
	v_fmac_f64_e32 v[30:31], v[22:23], v[66:67]
	v_fmac_f64_e32 v[46:47], v[22:23], v[62:63]
	v_mul_f64 v[22:23], v[10:11], v[66:67]
	v_fmac_f64_e32 v[22:23], v[62:63], v[16:17]
	buffer_load_dword v62, off, s[44:47], 0 offset:816 ; 4-byte Folded Reload
	buffer_load_dword v63, off, s[44:47], 0 offset:820 ; 4-byte Folded Reload
	s_waitcnt vmcnt(0)
	v_fmac_f64_e32 v[46:47], v[10:11], v[62:63]
	v_mul_f64 v[10:11], v[52:53], v[18:19]
	v_mul_f64 v[10:11], v[120:121], v[10:11]
	v_fmac_f64_e32 v[22:23], v[62:63], v[10:11]
	v_mul_f64 v[10:11], v[12:13], v[14:15]
	v_mul_f64 v[10:11], v[14:15], v[10:11]
	buffer_load_dword v12, off, s[44:47], 0 offset:72 ; 4-byte Folded Reload
	buffer_load_dword v13, off, s[44:47], 0 offset:76 ; 4-byte Folded Reload
	;; [unrolled: 1-line block ×4, first 2 shown]
	v_fmac_f64_e32 v[30:31], v[16:17], v[62:63]
	s_waitcnt vmcnt(0)
	v_add_f64 v[16:17], v[12:13], -v[14:15]
	buffer_load_dword v12, off, s[44:47], 0 offset:120 ; 4-byte Folded Reload
	buffer_load_dword v13, off, s[44:47], 0 offset:124 ; 4-byte Folded Reload
	;; [unrolled: 1-line block ×4, first 2 shown]
	v_mul_f64 v[16:17], v[16:17], s[16:17]
	s_waitcnt vmcnt(0)
	v_add_f64 v[18:19], v[12:13], -v[14:15]
	buffer_load_dword v12, off, s[44:47], 0 offset:104 ; 4-byte Folded Reload
	buffer_load_dword v13, off, s[44:47], 0 offset:108 ; 4-byte Folded Reload
	buffer_load_dword v14, off, s[44:47], 0 offset:128 ; 4-byte Folded Reload
	buffer_load_dword v15, off, s[44:47], 0 offset:132 ; 4-byte Folded Reload
	v_fma_f64 v[16:17], v[18:19], s[18:19], -v[16:17]
	s_waitcnt vmcnt(0)
	v_add_f64 v[18:19], v[12:13], -v[14:15]
	buffer_load_dword v12, off, s[44:47], 0 offset:152 ; 4-byte Folded Reload
	buffer_load_dword v13, off, s[44:47], 0 offset:156 ; 4-byte Folded Reload
	;; [unrolled: 1-line block ×4, first 2 shown]
	v_mul_f64 v[18:19], v[18:19], s[16:17]
	buffer_load_dword v120, off, s[44:47], 0 offset:484 ; 4-byte Folded Reload
	buffer_load_dword v121, off, s[44:47], 0 offset:488 ; 4-byte Folded Reload
	s_waitcnt vmcnt(2)
	v_add_f64 v[52:53], v[12:13], -v[14:15]
	v_fma_f64 v[18:19], v[52:53], s[18:19], -v[18:19]
	v_mul_f64 v[52:53], v[28:29], v[24:25]
	v_mul_f64 v[12:13], v[24:25], v[52:53]
	buffer_load_dword v52, off, s[44:47], 0 offset:492 ; 4-byte Folded Reload
	buffer_load_dword v53, off, s[44:47], 0 offset:496 ; 4-byte Folded Reload
	buffer_load_dword v14, off, s[44:47], 0 offset:540 ; 4-byte Folded Reload
	buffer_load_dword v15, off, s[44:47], 0 offset:544 ; 4-byte Folded Reload
	buffer_load_dword v94, off, s[44:47], 0 offset:468 ; 4-byte Folded Reload
	buffer_load_dword v95, off, s[44:47], 0 offset:472 ; 4-byte Folded Reload
	buffer_load_dword v96, off, s[44:47], 0 offset:476 ; 4-byte Folded Reload
	buffer_load_dword v97, off, s[44:47], 0 offset:480 ; 4-byte Folded Reload
	v_mul_f64 v[12:13], v[12:13], v[18:19]
	v_fma_f64 v[10:11], v[10:11], v[16:17], -v[12:13]
	s_waitcnt vmcnt(8)
	v_mul_f64 v[28:29], v[120:121], v[78:79]
	v_mul_f64 v[12:13], v[120:121], v[38:39]
	s_waitcnt vmcnt(6)
	v_mul_f64 v[16:17], v[52:53], v[38:39]
	s_waitcnt vmcnt(4)
	;; [unrolled: 2-line block ×3, first 2 shown]
	v_pk_mov_b32 v[94:95], v[96:97], v[96:97] op_sel:[0,1]
	v_mul_f64 v[24:25], v[52:53], v[32:33]
	v_mul_f64 v[32:33], v[52:53], v[78:79]
	v_mul_f64 v[52:53], v[94:95], v[18:19]
	v_mul_f64 v[18:19], v[64:65], v[26:27]
	v_mul_f64 v[76:77], v[94:95], v[24:25]
	v_mul_f64 v[14:15], v[26:27], v[18:19]
	buffer_load_dword v18, off, s[44:47], 0 offset:80 ; 4-byte Folded Reload
	buffer_load_dword v19, off, s[44:47], 0 offset:84 ; 4-byte Folded Reload
	;; [unrolled: 1-line block ×4, first 2 shown]
	v_mul_f64 v[66:67], v[94:95], v[28:29]
	v_mul_f64 v[62:63], v[94:95], v[12:13]
	;; [unrolled: 1-line block ×6, first 2 shown]
	s_waitcnt vmcnt(0)
	v_add_f64 v[18:19], v[18:19], -v[24:25]
	buffer_load_dword v24, off, s[44:47], 0 offset:144 ; 4-byte Folded Reload
	buffer_load_dword v25, off, s[44:47], 0 offset:148 ; 4-byte Folded Reload
	;; [unrolled: 1-line block ×4, first 2 shown]
	v_mul_f64 v[18:19], v[18:19], s[16:17]
	s_waitcnt vmcnt(0)
	v_add_f64 v[24:25], v[24:25], -v[26:27]
	v_fma_f64 v[18:19], v[24:25], s[18:19], -v[18:19]
	buffer_load_dword v24, off, s[44:47], 0 offset:96 ; 4-byte Folded Reload
	buffer_load_dword v25, off, s[44:47], 0 offset:100 ; 4-byte Folded Reload
	;; [unrolled: 1-line block ×4, first 2 shown]
	s_waitcnt vmcnt(0)
	v_add_f64 v[24:25], v[24:25], -v[26:27]
	buffer_load_dword v26, off, s[44:47], 0 offset:160 ; 4-byte Folded Reload
	buffer_load_dword v27, off, s[44:47], 0 offset:164 ; 4-byte Folded Reload
	;; [unrolled: 1-line block ×4, first 2 shown]
	v_mul_f64 v[24:25], v[24:25], s[16:17]
	s_waitcnt vmcnt(0)
	v_add_f64 v[28:29], v[26:27], -v[28:29]
	v_fma_f64 v[24:25], v[28:29], s[18:19], -v[24:25]
	v_mul_f64 v[14:15], v[14:15], v[24:25]
	v_fma_f64 v[14:15], v[12:13], v[18:19], -v[14:15]
	buffer_load_dword v12, off, s[44:47], 0 offset:176 ; 4-byte Folded Reload
	buffer_load_dword v13, off, s[44:47], 0 offset:180 ; 4-byte Folded Reload
	;; [unrolled: 1-line block ×4, first 2 shown]
	s_waitcnt vmcnt(0)
	v_add_f64 v[12:13], v[12:13], -v[18:19]
	buffer_load_dword v18, off, s[44:47], 0 offset:248 ; 4-byte Folded Reload
	buffer_load_dword v19, off, s[44:47], 0 offset:252 ; 4-byte Folded Reload
	;; [unrolled: 1-line block ×4, first 2 shown]
	v_mul_f64 v[12:13], v[12:13], s[16:17]
	s_waitcnt vmcnt(0)
	v_add_f64 v[18:19], v[18:19], -v[24:25]
	v_fma_f64 v[12:13], v[18:19], s[18:19], -v[12:13]
	buffer_load_dword v18, off, s[44:47], 0 offset:224 ; 4-byte Folded Reload
	buffer_load_dword v19, off, s[44:47], 0 offset:228 ; 4-byte Folded Reload
	;; [unrolled: 1-line block ×4, first 2 shown]
	s_waitcnt vmcnt(0)
	v_add_f64 v[18:19], v[18:19], -v[24:25]
	buffer_load_dword v24, off, s[44:47], 0 offset:288 ; 4-byte Folded Reload
	buffer_load_dword v25, off, s[44:47], 0 offset:292 ; 4-byte Folded Reload
	;; [unrolled: 1-line block ×4, first 2 shown]
	v_mul_f64 v[18:19], v[18:19], s[16:17]
	s_waitcnt vmcnt(0)
	v_add_f64 v[24:25], v[24:25], -v[26:27]
	v_fma_f64 v[18:19], v[24:25], s[18:19], -v[18:19]
	buffer_load_dword v24, off, s[44:47], 0 offset:652 ; 4-byte Folded Reload
	buffer_load_dword v25, off, s[44:47], 0 offset:656 ; 4-byte Folded Reload
	s_waitcnt vmcnt(0)
	v_mul_f64 v[18:19], v[24:25], v[18:19]
	buffer_load_dword v24, off, s[44:47], 0 offset:684 ; 4-byte Folded Reload
	buffer_load_dword v25, off, s[44:47], 0 offset:688 ; 4-byte Folded Reload
	s_waitcnt vmcnt(0)
	v_fma_f64 v[12:13], v[24:25], v[12:13], -v[18:19]
	buffer_load_dword v18, off, s[44:47], 0 offset:200 ; 4-byte Folded Reload
	buffer_load_dword v19, off, s[44:47], 0 offset:204 ; 4-byte Folded Reload
	;; [unrolled: 1-line block ×4, first 2 shown]
	s_waitcnt vmcnt(0)
	v_add_f64 v[18:19], v[18:19], -v[24:25]
	buffer_load_dword v24, off, s[44:47], 0 offset:272 ; 4-byte Folded Reload
	buffer_load_dword v25, off, s[44:47], 0 offset:276 ; 4-byte Folded Reload
	;; [unrolled: 1-line block ×4, first 2 shown]
	v_mul_f64 v[18:19], v[18:19], s[16:17]
	s_waitcnt vmcnt(0)
	v_add_f64 v[24:25], v[24:25], -v[26:27]
	v_fma_f64 v[18:19], v[24:25], s[18:19], -v[18:19]
	buffer_load_dword v24, off, s[44:47], 0 offset:232 ; 4-byte Folded Reload
	buffer_load_dword v25, off, s[44:47], 0 offset:236 ; 4-byte Folded Reload
	;; [unrolled: 1-line block ×4, first 2 shown]
	s_waitcnt vmcnt(0)
	v_add_f64 v[24:25], v[24:25], -v[26:27]
	buffer_load_dword v26, off, s[44:47], 0 offset:296 ; 4-byte Folded Reload
	buffer_load_dword v27, off, s[44:47], 0 offset:300 ; 4-byte Folded Reload
	;; [unrolled: 1-line block ×4, first 2 shown]
	v_mul_f64 v[24:25], v[24:25], s[16:17]
	s_waitcnt vmcnt(0)
	v_add_f64 v[28:29], v[26:27], -v[28:29]
	buffer_load_dword v26, off, s[44:47], 0 offset:636 ; 4-byte Folded Reload
	buffer_load_dword v27, off, s[44:47], 0 offset:640 ; 4-byte Folded Reload
	v_fma_f64 v[24:25], v[28:29], s[18:19], -v[24:25]
	s_waitcnt vmcnt(0)
	v_mul_f64 v[24:25], v[26:27], v[24:25]
	buffer_load_dword v26, off, s[44:47], 0 offset:644 ; 4-byte Folded Reload
	buffer_load_dword v27, off, s[44:47], 0 offset:648 ; 4-byte Folded Reload
	s_waitcnt vmcnt(0)
	v_fma_f64 v[18:19], v[26:27], v[18:19], -v[24:25]
	buffer_load_dword v24, off, s[44:47], 0 offset:724 ; 4-byte Folded Reload
	buffer_load_dword v25, off, s[44:47], 0 offset:728 ; 4-byte Folded Reload
	;; [unrolled: 1-line block ×4, first 2 shown]
	s_waitcnt vmcnt(2)
	v_mul_f64 v[24:25], v[24:25], s[16:17]
	s_waitcnt vmcnt(0)
	v_fma_f64 v[24:25], v[26:27], s[18:19], -v[24:25]
	buffer_load_dword v26, off, s[44:47], 0 offset:716 ; 4-byte Folded Reload
	buffer_load_dword v27, off, s[44:47], 0 offset:720 ; 4-byte Folded Reload
	s_waitcnt vmcnt(0)
	v_mul_f64 v[28:29], v[26:27], s[16:17]
	buffer_load_dword v26, off, s[44:47], 0 offset:732 ; 4-byte Folded Reload
	buffer_load_dword v27, off, s[44:47], 0 offset:736 ; 4-byte Folded Reload
	s_waitcnt vmcnt(0)
	v_fma_f64 v[64:65], v[26:27], s[18:19], -v[28:29]
	buffer_load_dword v26, off, s[44:47], 0 offset:880 ; 4-byte Folded Reload
	buffer_load_dword v27, off, s[44:47], 0 offset:884 ; 4-byte Folded Reload
	v_add_f64 v[28:29], v[126:127], v[30:31]
	v_add_f64 v[28:29], v[28:29], v[24:25]
	s_waitcnt vmcnt(0)
	v_add_f64 v[30:31], v[26:27], v[46:47]
	v_mul_f64 v[46:47], v[58:59], v[62:63]
	v_add_f64 v[24:25], v[30:31], v[64:65]
	v_add_f64 v[30:31], v[42:43], -v[86:87]
	v_mul_f64 v[42:43], v[2:3], v[52:53]
	v_mul_f64 v[46:47], v[4:5], v[46:47]
	v_fmac_f64_e32 v[46:47], v[102:103], v[42:43]
	v_fmac_f64_e32 v[46:47], v[110:111], v[66:67]
	v_add_f64 v[42:43], v[46:47], -v[104:105]
	v_mul_f64 v[30:31], v[30:31], s[16:17]
	v_fma_f64 v[42:43], v[42:43], s[18:19], -v[30:31]
	v_add_f64 v[30:31], v[34:35], -v[124:125]
	v_mul_f64 v[34:35], v[58:59], v[76:77]
	v_mul_f64 v[34:35], v[2:3], v[34:35]
	;; [unrolled: 1-line block ×3, first 2 shown]
	v_fmac_f64_e32 v[34:35], v[102:103], v[16:17]
	v_add_f64 v[16:17], v[34:35], -v[8:9]
	buffer_load_dword v8, off, s[44:47], 0 offset:564 ; 4-byte Folded Reload
	buffer_load_dword v9, off, s[44:47], 0 offset:568 ; 4-byte Folded Reload
	v_mul_f64 v[30:31], v[30:31], s[16:17]
	v_fma_f64 v[38:39], v[16:17], s[18:19], -v[30:31]
	v_mul_f64 v[16:17], v[102:103], v[32:33]
	v_mul_f64 v[26:27], v[110:111], v[76:77]
	v_fmac_f64_e32 v[16:17], v[2:3], v[26:27]
	v_add_f64 v[2:3], v[16:17], -v[20:21]
	s_waitcnt vmcnt(0)
	v_add_f64 v[8:9], v[92:93], -v[8:9]
	v_mul_f64 v[8:9], v[8:9], s[16:17]
	v_fma_f64 v[8:9], v[2:3], s[18:19], -v[8:9]
	v_mul_f64 v[2:3], v[10:11], s[16:17]
	v_fma_f64 v[10:11], v[14:15], s[18:19], -v[2:3]
	buffer_load_dword v2, off, s[44:47], 0 offset:692 ; 4-byte Folded Reload
	buffer_load_dword v3, off, s[44:47], 0 offset:696 ; 4-byte Folded Reload
	;; [unrolled: 1-line block ×12, first 2 shown]
	s_waitcnt vmcnt(11)
	v_add_co_u32_e32 v2, vcc, s14, v2
	s_waitcnt vmcnt(10)
	v_addc_co_u32_e32 v3, vcc, v37, v3, vcc
	s_waitcnt vmcnt(9)
	v_add_co_u32_e32 v14, vcc, s14, v14
	s_waitcnt vmcnt(8)
	v_addc_co_u32_e32 v15, vcc, v37, v15, vcc
	s_waitcnt vmcnt(7)
	v_add_co_u32_e32 v16, vcc, s14, v16
	s_waitcnt vmcnt(6)
	v_addc_co_u32_e32 v17, vcc, v37, v17, vcc
	s_waitcnt vmcnt(5)
	v_add_co_u32_e32 v20, vcc, s14, v20
	s_waitcnt vmcnt(4)
	v_addc_co_u32_e32 v21, vcc, v37, v21, vcc
	s_waitcnt vmcnt(3)
	v_add_co_u32_e32 v26, vcc, s14, v26
	s_waitcnt vmcnt(2)
	v_addc_co_u32_e32 v27, vcc, v37, v27, vcc
	s_waitcnt vmcnt(1)
	v_add_co_u32_e32 v40, vcc, s14, v30
	s_waitcnt vmcnt(0)
	v_addc_co_u32_e32 v41, vcc, v37, v31, vcc
	buffer_load_dword v30, off, s[44:47], 0 offset:628 ; 4-byte Folded Reload
	buffer_load_dword v31, off, s[44:47], 0 offset:632 ; 4-byte Folded Reload
	s_waitcnt vmcnt(1)
	v_add_co_u32_e32 v52, vcc, s14, v30
	s_waitcnt vmcnt(0)
	v_addc_co_u32_e32 v53, vcc, v37, v31, vcc
	buffer_load_dword v30, off, s[44:47], 0 offset:516 ; 4-byte Folded Reload
	buffer_load_dword v31, off, s[44:47], 0 offset:520 ; 4-byte Folded Reload
	s_waitcnt vmcnt(1)
	v_add_co_u32_e32 v58, vcc, s14, v30
	s_waitcnt vmcnt(0)
	v_addc_co_u32_e32 v59, vcc, v37, v31, vcc
	global_load_dwordx2 v[34:35], v[2:3], off
	global_load_dwordx2 v[46:47], v[14:15], off
	;; [unrolled: 1-line block ×4, first 2 shown]
	s_nop 0
	global_load_dwordx2 v[20:21], v[26:27], off
	s_nop 0
	global_load_dwordx2 v[26:27], v[40:41], off
	global_load_dwordx2 v[14:15], v[52:53], off
	;; [unrolled: 1-line block ×3, first 2 shown]
	v_mul_f64 v[2:3], v[12:13], s[16:17]
	v_fma_f64 v[12:13], v[18:19], s[18:19], -v[2:3]
	buffer_load_dword v2, off, s[44:47], 0 offset:872 ; 4-byte Folded Reload
	buffer_load_dword v3, off, s[44:47], 0 offset:876 ; 4-byte Folded Reload
	;; [unrolled: 1-line block ×16, first 2 shown]
	v_add_f64 v[52:53], v[10:11], v[28:29]
	v_add_f64 v[10:11], v[12:13], v[24:25]
	;; [unrolled: 1-line block ×3, first 2 shown]
	buffer_load_dword v86, off, s[44:47], 0 offset:384 ; 4-byte Folded Reload
	buffer_load_dword v87, off, s[44:47], 0 offset:388 ; 4-byte Folded Reload
	;; [unrolled: 1-line block ×4, first 2 shown]
	v_fmac_f64_e32 v[52:53], v[122:123], v[42:43]
	s_waitcnt vmcnt(18)
	v_add_f64 v[2:3], v[2:3], v[22:23]
	v_fmac_f64_e32 v[2:3], v[122:123], v[8:9]
	s_waitcnt vmcnt(16)
	v_mul_f64 v[8:9], v[94:95], v[34:35]
	s_waitcnt vmcnt(14)
	v_mul_f64 v[22:23], v[96:97], v[8:9]
	v_mul_f64 v[8:9], v[98:99], v[22:23]
	s_waitcnt vmcnt(12)
	v_mul_f64 v[8:9], v[92:93], v[8:9]
	v_mul_f64 v[10:11], v[94:95], v[46:47]
	;; [unrolled: 1-line block ×4, first 2 shown]
	v_fmac_f64_e32 v[8:9], v[70:71], v[10:11]
	s_waitcnt vmcnt(10)
	v_mul_f64 v[10:11], v[80:81], v[30:31]
	s_waitcnt vmcnt(8)
	v_mul_f64 v[24:25], v[104:105], v[10:11]
	v_mul_f64 v[10:11], v[100:101], v[24:25]
	s_waitcnt vmcnt(6)
	v_mul_f64 v[10:11], v[76:77], v[10:11]
	v_mul_f64 v[12:13], v[80:81], v[32:33]
	;; [unrolled: 1-line block ×4, first 2 shown]
	v_fmac_f64_e32 v[10:11], v[72:73], v[12:13]
	v_add_f64 v[12:13], v[8:9], -v[10:11]
	buffer_load_dword v10, off, s[44:47], 0 offset:436 ; 4-byte Folded Reload
	s_waitcnt vmcnt(3)
	v_mul_f64 v[8:9], v[86:87], v[20:21]
	s_waitcnt vmcnt(1)
	v_mul_f64 v[28:29], v[110:111], v[8:9]
	v_add_u32_e32 v8, s0, v61
	v_ashrrev_i32_e32 v9, 31, v8
	v_lshlrev_b64 v[8:9], 3, v[8:9]
	v_add_co_u32_e32 v8, vcc, s14, v8
	v_addc_co_u32_e32 v9, vcc, v37, v9, vcc
	v_mul_f64 v[12:13], v[12:13], s[16:17]
	s_waitcnt vmcnt(0)
	v_add_u32_e32 v10, s0, v10
	v_ashrrev_i32_e32 v11, 31, v10
	v_lshlrev_b64 v[10:11], 3, v[10:11]
	v_add_co_u32_e32 v38, vcc, s14, v10
	buffer_load_dword v10, off, s[44:47], 0 offset:440 ; 4-byte Folded Reload
	v_addc_co_u32_e32 v39, vcc, v37, v11, vcc
	s_waitcnt vmcnt(0)
	v_add_u32_e32 v10, s0, v10
	v_ashrrev_i32_e32 v11, 31, v10
	v_lshlrev_b64 v[10:11], 3, v[10:11]
	v_add_co_u32_e32 v40, vcc, s14, v10
	buffer_load_dword v10, off, s[44:47], 0 offset:432 ; 4-byte Folded Reload
	buffer_load_dword v66, off, s[44:47], 0 offset:352 ; 4-byte Folded Reload
	buffer_load_dword v67, off, s[44:47], 0 offset:356 ; 4-byte Folded Reload
	buffer_load_dword v102, off, s[44:47], 0 offset:8 ; 4-byte Folded Reload
	buffer_load_dword v103, off, s[44:47], 0 offset:12 ; 4-byte Folded Reload
	v_addc_co_u32_e32 v41, vcc, v37, v11, vcc
	s_waitcnt vmcnt(4)
	v_add_u32_e32 v10, s0, v10
	v_ashrrev_i32_e32 v11, 31, v10
	v_lshlrev_b64 v[10:11], 3, v[10:11]
	v_add_co_u32_e32 v58, vcc, s14, v10
	v_addc_co_u32_e32 v59, vcc, v37, v11, vcc
	v_mul_f64 v[10:11], v[88:89], v[28:29]
	v_mul_f64 v[10:11], v[6:7], v[10:11]
	;; [unrolled: 1-line block ×5, first 2 shown]
	v_fmac_f64_e32 v[42:43], v[82:83], v[10:11]
	s_waitcnt vmcnt(2)
	v_mul_f64 v[10:11], v[66:67], v[14:15]
	s_waitcnt vmcnt(0)
	v_mul_f64 v[10:11], v[102:103], v[10:11]
	v_mul_f64 v[62:63], v[74:75], v[10:11]
	;; [unrolled: 1-line block ×6, first 2 shown]
	v_fmac_f64_e32 v[62:63], v[112:113], v[64:65]
	v_add_f64 v[62:63], v[42:43], -v[62:63]
	v_fma_f64 v[12:13], v[62:63], s[18:19], -v[12:13]
	global_load_dwordx2 v[8:9], v[8:9], off
	s_nop 0
	global_load_dwordx2 v[42:43], v[38:39], off
	s_nop 0
	;; [unrolled: 2-line block ×3, first 2 shown]
	global_load_dwordx2 v[38:39], v[58:59], off
	v_add_f64 v[12:13], v[52:53], v[12:13]
	buffer_load_dword v58, off, s[44:47], 0 offset:64 ; 4-byte Folded Reload
	buffer_load_dword v59, off, s[44:47], 0 offset:68 ; 4-byte Folded Reload
	;; [unrolled: 1-line block ×4, first 2 shown]
	s_waitcnt vmcnt(2)
	v_mul_f64 v[46:47], v[58:59], v[46:47]
	s_waitcnt vmcnt(0)
	v_mul_f64 v[34:35], v[52:53], v[34:35]
	v_mul_f64 v[34:35], v[96:97], v[34:35]
	;; [unrolled: 1-line block ×6, first 2 shown]
	v_fmac_f64_e32 v[34:35], v[98:99], v[46:47]
	v_mul_f64 v[46:47], v[58:59], v[8:9]
	v_mul_f64 v[46:47], v[96:97], v[46:47]
	;; [unrolled: 1-line block ×3, first 2 shown]
	v_fmac_f64_e32 v[34:35], v[84:85], v[46:47]
	buffer_load_dword v58, off, s[44:47], 0 offset:40 ; 4-byte Folded Reload
	buffer_load_dword v59, off, s[44:47], 0 offset:44 ; 4-byte Folded Reload
	buffer_load_dword v46, off, s[44:47], 0 offset:400 ; 4-byte Folded Reload
	buffer_load_dword v47, off, s[44:47], 0 offset:404 ; 4-byte Folded Reload
	v_pk_mov_b32 v[52:53], v[104:105], v[104:105] op_sel:[0,1]
	v_pk_mov_b32 v[98:99], v[84:85], v[84:85] op_sel:[0,1]
	v_mul_f64 v[8:9], v[94:95], v[8:9]
	v_mul_f64 v[8:9], v[96:97], v[8:9]
	;; [unrolled: 1-line block ×3, first 2 shown]
	s_waitcnt vmcnt(2)
	v_mul_f64 v[32:33], v[58:59], v[32:33]
	s_waitcnt vmcnt(0)
	v_mul_f64 v[30:31], v[46:47], v[30:31]
	v_mul_f64 v[30:31], v[52:53], v[30:31]
	;; [unrolled: 1-line block ×6, first 2 shown]
	v_fmac_f64_e32 v[30:31], v[100:101], v[32:33]
	v_mul_f64 v[32:33], v[58:59], v[42:43]
	v_mul_f64 v[32:33], v[52:53], v[32:33]
	;; [unrolled: 1-line block ×3, first 2 shown]
	v_fmac_f64_e32 v[30:31], v[98:99], v[32:33]
	buffer_load_dword v46, off, s[44:47], 0 offset:48 ; 4-byte Folded Reload
	buffer_load_dword v47, off, s[44:47], 0 offset:52 ; 4-byte Folded Reload
	;; [unrolled: 1-line block ×4, first 2 shown]
	v_add_f64 v[30:31], v[34:35], -v[30:31]
	v_pk_mov_b32 v[34:35], v[110:111], v[110:111] op_sel:[0,1]
	v_mul_f64 v[30:31], v[30:31], s[16:17]
	s_waitcnt vmcnt(2)
	v_mul_f64 v[26:27], v[46:47], v[26:27]
	s_waitcnt vmcnt(0)
	v_mul_f64 v[20:21], v[32:33], v[20:21]
	v_mul_f64 v[20:21], v[34:35], v[20:21]
	;; [unrolled: 1-line block ×6, first 2 shown]
	v_fmac_f64_e32 v[20:21], v[88:89], v[26:27]
	v_mul_f64 v[26:27], v[46:47], v[40:41]
	v_mul_f64 v[26:27], v[34:35], v[26:27]
	;; [unrolled: 1-line block ×3, first 2 shown]
	v_fmac_f64_e32 v[20:21], v[98:99], v[26:27]
	buffer_load_dword v46, off, s[44:47], 0 offset:32 ; 4-byte Folded Reload
	buffer_load_dword v47, off, s[44:47], 0 offset:36 ; 4-byte Folded Reload
	;; [unrolled: 1-line block ×4, first 2 shown]
	v_pk_mov_b32 v[32:33], v[102:103], v[102:103] op_sel:[0,1]
	s_waitcnt vmcnt(2)
	v_mul_f64 v[16:17], v[46:47], v[16:17]
	s_waitcnt vmcnt(0)
	v_mul_f64 v[14:15], v[26:27], v[14:15]
	v_mul_f64 v[14:15], v[32:33], v[14:15]
	;; [unrolled: 1-line block ×6, first 2 shown]
	v_fmac_f64_e32 v[14:15], v[74:75], v[16:17]
	v_mul_f64 v[16:17], v[46:47], v[38:39]
	v_mul_f64 v[16:17], v[32:33], v[16:17]
	;; [unrolled: 1-line block ×3, first 2 shown]
	v_fmac_f64_e32 v[14:15], v[98:99], v[16:17]
	v_add_f64 v[14:15], v[20:21], -v[14:15]
	v_fma_f64 v[14:15], v[14:15], s[18:19], -v[30:31]
	v_add_f64 v[14:15], v[18:19], v[14:15]
	v_mul_f64 v[18:19], v[80:81], v[42:43]
	v_mul_f64 v[16:17], v[118:119], v[22:23]
	;; [unrolled: 1-line block ×3, first 2 shown]
	v_fmac_f64_e32 v[8:9], v[92:93], v[16:17]
	v_mul_f64 v[16:17], v[116:117], v[24:25]
	v_mul_f64 v[18:19], v[72:73], v[18:19]
	v_fmac_f64_e32 v[18:19], v[76:77], v[16:17]
	v_add_f64 v[8:9], v[8:9], -v[18:19]
	v_mul_f64 v[18:19], v[86:87], v[40:41]
	v_mul_f64 v[18:19], v[34:35], v[18:19]
	;; [unrolled: 1-line block ×4, first 2 shown]
	v_fmac_f64_e32 v[18:19], v[6:7], v[16:17]
	v_mul_f64 v[6:7], v[114:115], v[10:11]
	v_mul_f64 v[10:11], v[66:67], v[38:39]
	v_mul_f64 v[10:11], v[32:33], v[10:11]
	v_mul_f64 v[10:11], v[112:113], v[10:11]
	v_fmac_f64_e32 v[10:11], v[78:79], v[6:7]
	v_mul_f64 v[8:9], v[8:9], s[16:17]
	v_add_f64 v[6:7], v[18:19], -v[10:11]
	v_fma_f64 v[6:7], v[6:7], s[18:19], -v[8:9]
	v_fmac_f64_e32 v[2:3], v[98:99], v[6:7]
	buffer_load_dword v6, off, s[44:47], 0 offset:744 ; 4-byte Folded Reload
	buffer_load_dword v7, off, s[44:47], 0 offset:748 ; 4-byte Folded Reload
	s_waitcnt vmcnt(1)
	v_subrev_u32_e32 v34, s22, v6
	buffer_load_dword v6, off, s[44:47], 0 offset:752 ; 4-byte Folded Reload
	buffer_load_dword v7, off, s[44:47], 0 offset:756 ; 4-byte Folded Reload
	s_waitcnt vmcnt(1)
	v_subrev_u32_e32 v35, s22, v6
	;; [unrolled: 4-line block ×4, first 2 shown]
.LBB4_11:                               ; =>This Inner Loop Header: Depth=1
	v_add_u32_e32 v6, s33, v37
	s_waitcnt vmcnt(0)
	v_ashrrev_i32_e32 v7, 31, v6
	v_lshlrev_b64 v[6:7], 3, v[6:7]
	v_mov_b32_e32 v41, s11
	v_add_co_u32_e64 v66, s[0:1], s10, v6
	v_add_u32_e32 v8, s33, v38
	v_addc_co_u32_e64 v67, s[0:1], v41, v7, s[0:1]
	v_mov_b32_e32 v42, s13
	v_ashrrev_i32_e32 v9, 31, v8
	v_add_co_u32_e64 v70, s[0:1], s12, v6
	v_lshlrev_b64 v[8:9], 3, v[8:9]
	v_addc_co_u32_e64 v71, s[0:1], v42, v7, s[0:1]
	v_mov_b32_e32 v43, s15
	v_add_co_u32_e64 v72, s[0:1], s14, v8
	v_addc_co_u32_e64 v73, s[0:1], v43, v9, s[0:1]
	v_add_co_u32_e64 v74, s[0:1], s14, v6
	v_add_u32_e32 v10, s33, v34
	v_addc_co_u32_e64 v75, s[0:1], v43, v7, s[0:1]
	v_mov_b32_e32 v40, s9
	v_ashrrev_i32_e32 v11, 31, v10
	v_add_co_u32_e64 v76, s[0:1], s8, v6
	v_lshlrev_b64 v[10:11], 3, v[10:11]
	v_addc_co_u32_e64 v77, s[0:1], v40, v7, s[0:1]
	v_add_co_u32_e64 v78, s[0:1], s14, v10
	v_add_u32_e32 v16, s33, v35
	v_addc_co_u32_e64 v79, s[0:1], v43, v11, s[0:1]
	v_ashrrev_i32_e32 v17, 31, v16
	v_add_co_u32_e64 v80, s[0:1], s8, v8
	v_lshlrev_b64 v[16:17], 3, v[16:17]
	v_addc_co_u32_e64 v81, s[0:1], v40, v9, s[0:1]
	v_add_co_u32_e64 v42, s[0:1], s14, v16
	v_add_u32_e32 v18, s33, v54
	v_addc_co_u32_e64 v43, s[0:1], v43, v17, s[0:1]
	v_ashrrev_i32_e32 v19, 31, v18
	v_add_co_u32_e64 v10, s[0:1], s8, v10
	v_add_u32_e32 v20, s33, v45
	v_lshlrev_b64 v[18:19], 3, v[18:19]
	v_addc_co_u32_e64 v11, s[0:1], v40, v11, s[0:1]
	v_ashrrev_i32_e32 v21, 31, v20
	v_add_co_u32_e64 v82, s[0:1], s8, v18
	v_add_u32_e32 v22, s33, v90
	v_lshlrev_b64 v[20:21], 3, v[20:21]
	;; [unrolled: 5-line block ×11, first 2 shown]
	v_addc_co_u32_e64 v53, s[0:1], v40, v53, s[0:1]
	v_ashrrev_i32_e32 v63, 31, v62
	v_add_co_u32_e64 v58, s[0:1], s8, v58
	v_lshlrev_b64 v[62:63], 3, v[62:63]
	v_addc_co_u32_e64 v59, s[0:1], v40, v59, s[0:1]
	v_add_co_u32_e64 v62, s[0:1], s8, v62
	v_addc_co_u32_e64 v63, s[0:1], v40, v63, s[0:1]
	global_load_dwordx2 v[66:67], v[66:67], off
	s_nop 0
	global_load_dwordx2 v[70:71], v[70:71], off
	s_nop 0
	;; [unrolled: 2-line block ×4, first 2 shown]
	global_load_dwordx4 v[6:9], v[76:77], off offset:8
	global_load_dwordx4 v[16:19], v[76:77], off offset:-16
	s_nop 0
	global_load_dwordx2 v[76:77], v[78:79], off
	global_load_dwordx4 v[20:23], v[80:81], off offset:8
	global_load_dwordx4 v[24:27], v[80:81], off offset:-16
	s_nop 0
	global_load_dwordx2 v[78:79], v[42:43], off
	global_load_dwordx4 v[28:31], v[10:11], off offset:8
	s_nop 0
	global_load_dwordx4 v[40:43], v[10:11], off offset:-16
	s_nop 0
	global_load_dwordx2 v[10:11], v[82:83], off
	global_load_dwordx2 v[80:81], v[84:85], off
	s_nop 0
	global_load_dwordx2 v[82:83], v[86:87], off
	global_load_dwordx2 v[84:85], v[88:89], off
	;; [unrolled: 3-line block ×3, first 2 shown]
	s_nop 0
	global_load_dwordx2 v[92:93], v[96:97], off
	s_nop 0
	global_load_dwordx2 v[32:33], v[32:33], off
	;; [unrolled: 2-line block ×6, first 2 shown]
	v_ashrrev_i32_e32 v61, 31, v60
	v_lshlrev_b64 v[64:65], 3, v[60:61]
	v_mov_b32_e32 v39, s7
	v_add_co_u32_e32 v64, vcc, s6, v64
	v_addc_co_u32_e32 v65, vcc, v39, v65, vcc
	global_load_dwordx2 v[64:65], v[64:65], off
	s_add_i32 s30, s30, 1
	v_add_u32_e32 v50, s20, v50
	v_add_u32_e32 v51, s20, v51
	;; [unrolled: 1-line block ×16, first 2 shown]
	v_add_u32_e32 v60, -6, v60
	s_cmp_ge_i32 s30, s21
	s_waitcnt vmcnt(23)
	v_fma_f64 v[94:95], 2.0, v[66:67], v[70:71]
	s_waitcnt vmcnt(19)
	v_add_f64 v[8:9], v[8:9], -v[16:17]
	v_add_f64 v[6:7], v[6:7], -v[18:19]
	s_waitcnt vmcnt(18)
	v_mul_f64 v[16:17], v[66:67], v[76:77]
	s_waitcnt vmcnt(16)
	v_add_f64 v[18:19], v[22:23], -v[24:25]
	v_add_f64 v[20:21], v[20:21], -v[26:27]
	s_waitcnt vmcnt(15)
	v_mul_f64 v[22:23], v[66:67], v[78:79]
	s_waitcnt vmcnt(13)
	v_add_f64 v[24:25], v[30:31], -v[40:41]
	v_mul_f64 v[66:67], v[66:67], v[72:73]
	v_mul_f64 v[8:9], v[8:9], s[16:17]
	;; [unrolled: 1-line block ×3, first 2 shown]
	v_add_f64 v[26:27], v[28:29], -v[42:43]
	s_waitcnt vmcnt(11)
	v_add_f64 v[10:11], v[10:11], -v[80:81]
	s_waitcnt vmcnt(7)
	v_add_f64 v[40:41], v[86:87], -v[88:89]
	v_mul_f64 v[16:17], v[74:75], v[16:17]
	s_waitcnt vmcnt(5)
	v_add_f64 v[32:33], v[92:93], -v[32:33]
	v_mul_f64 v[24:25], v[24:25], s[16:17]
	;; [unrolled: 3-line block ×4, first 2 shown]
	v_mul_f64 v[66:67], v[66:67], v[74:75]
	v_fma_f64 v[6:7], v[6:7], s[18:19], -v[8:9]
	v_fma_f64 v[8:9], v[20:21], s[18:19], -v[18:19]
	v_add_f64 v[28:29], v[82:83], -v[84:85]
	v_mul_f64 v[22:23], v[74:75], v[22:23]
	v_mul_f64 v[10:11], v[10:11], s[16:17]
	;; [unrolled: 1-line block ×3, first 2 shown]
	v_fma_f64 v[18:19], v[26:27], s[18:19], -v[24:25]
	v_fma_f64 v[20:21], v[32:33], s[18:19], -v[40:41]
	v_mul_f64 v[32:33], v[16:17], v[8:9]
	v_mul_f64 v[8:9], v[66:67], v[8:9]
	v_mul_f64 v[30:31], v[70:71], v[72:73]
	v_mul_f64 v[42:43], v[70:71], v[76:77]
	v_mul_f64 v[58:59], v[70:71], v[78:79]
	v_mul_f64 v[70:71], v[94:95], v[76:77]
	v_mul_f64 v[46:47], v[46:47], s[16:17]
	v_fma_f64 v[10:11], v[28:29], s[18:19], -v[10:11]
	v_mul_f64 v[28:29], v[62:63], v[6:7]
	v_mul_f64 v[40:41], v[22:23], v[18:19]
	v_mul_f64 v[18:19], v[66:67], v[18:19]
	v_mul_f64 v[8:9], v[0:1], v[8:9]
	v_mul_f64 v[42:43], v[74:75], v[42:43]
	v_mul_f64 v[58:59], v[74:75], v[58:59]
	v_mul_f64 v[24:25], v[74:75], v[70:71]
	;; [unrolled: 8-line block ×3, first 2 shown]
	v_fmac_f64_e32 v[32:33], v[122:123], v[28:29]
	v_mul_f64 v[18:19], v[122:123], v[18:19]
	v_fmac_f64_e32 v[8:9], v[42:43], v[6:7]
	v_mul_f64 v[46:47], v[4:5], v[46:47]
	v_mul_f64 v[24:25], v[4:5], v[24:25]
	v_mul_f64 v[16:17], v[4:5], v[16:17]
	v_fmac_f64_e32 v[32:33], v[122:123], v[40:41]
	v_fmac_f64_e32 v[18:19], v[122:123], v[52:53]
	;; [unrolled: 1-line block ×3, first 2 shown]
	v_mul_f64 v[30:31], v[30:31], v[74:75]
	v_mul_f64 v[22:23], v[22:23], v[26:27]
	;; [unrolled: 1-line block ×3, first 2 shown]
	v_fmac_f64_e32 v[32:33], v[98:99], v[46:47]
	v_fmac_f64_e32 v[18:19], v[98:99], v[16:17]
	;; [unrolled: 1-line block ×6, first 2 shown]
	s_waitcnt vmcnt(0)
	v_fma_f64 v[12:13], -v[64:65], v[32:33], v[12:13]
	v_fma_f64 v[2:3], -v[64:65], v[18:19], v[2:3]
	;; [unrolled: 1-line block ×3, first 2 shown]
	s_cbranch_scc0 .LBB4_11
; %bb.12:
	buffer_load_dword v6, off, s[44:47], 0 offset:312 ; 4-byte Folded Reload
	buffer_load_dword v7, off, s[44:47], 0 offset:316 ; 4-byte Folded Reload
	v_mov_b32_e32 v22, s3
	v_mul_f64 v[0:1], v[0:1], v[4:5]
	s_load_dwordx4 s[4:7], s[4:5], 0x38
	s_waitcnt lgkmcnt(0)
	v_mul_f64 v[12:13], v[12:13], s[6:7]
	v_mul_f64 v[2:3], v[2:3], s[6:7]
	s_waitcnt vmcnt(1)
	v_add_co_u32_e32 v6, vcc, s2, v6
	s_waitcnt vmcnt(0)
	v_addc_co_u32_e32 v7, vcc, v22, v7, vcc
	global_load_dwordx2 v[8:9], v[6:7], off
	buffer_load_dword v24, off, s[44:47], 0 offset:328 ; 4-byte Folded Reload
	buffer_load_dword v25, off, s[44:47], 0 offset:332 ; 4-byte Folded Reload
	buffer_load_dword v18, off, s[44:47], 0 ; 4-byte Folded Reload
	buffer_load_dword v19, off, s[44:47], 0 offset:4 ; 4-byte Folded Reload
	s_waitcnt vmcnt(2)
	v_div_scale_f64 v[4:5], s[0:1], v[24:25], v[24:25], v[0:1]
	v_rcp_f64_e32 v[16:17], v[4:5]
	v_div_scale_f64 v[10:11], vcc, v[0:1], v[24:25], v[0:1]
	s_waitcnt vmcnt(1)
	v_add_co_u32_e64 v18, s[0:1], s2, v18
	v_fma_f64 v[20:21], -v[4:5], v[16:17], 1.0
	v_fmac_f64_e32 v[16:17], v[16:17], v[20:21]
	v_fma_f64 v[20:21], -v[4:5], v[16:17], 1.0
	v_fmac_f64_e32 v[16:17], v[16:17], v[20:21]
	v_mul_f64 v[20:21], v[10:11], v[16:17]
	v_fma_f64 v[4:5], -v[4:5], v[20:21], v[10:11]
	v_div_fmas_f64 v[4:5], v[4:5], v[16:17], v[20:21]
	v_div_fixup_f64 v[0:1], v[4:5], v[24:25], v[0:1]
	v_mul_f64 v[4:5], v[8:9], s[4:5]
	v_fmac_f64_e32 v[4:5], v[0:1], v[12:13]
	s_waitcnt vmcnt(0)
	v_addc_co_u32_e64 v19, s[0:1], v22, v19, s[0:1]
	global_store_dwordx2 v[6:7], v[4:5], off
	global_load_dwordx2 v[4:5], v[18:19], off
	s_nop 0
	buffer_load_dword v6, off, s[44:47], 0 offset:320 ; 4-byte Folded Reload
	buffer_load_dword v7, off, s[44:47], 0 offset:324 ; 4-byte Folded Reload
	v_mul_f64 v[8:9], v[14:15], s[6:7]
	s_waitcnt vmcnt(2)
	v_mul_f64 v[4:5], v[4:5], s[4:5]
	s_waitcnt vmcnt(1)
	v_add_co_u32_e32 v6, vcc, s2, v6
	v_fmac_f64_e32 v[4:5], v[0:1], v[8:9]
	s_waitcnt vmcnt(0)
	v_addc_co_u32_e32 v7, vcc, v22, v7, vcc
	global_store_dwordx2 v[18:19], v[4:5], off
	global_load_dwordx2 v[4:5], v[6:7], off
	s_waitcnt vmcnt(0)
	v_mul_f64 v[4:5], v[4:5], s[4:5]
	v_fmac_f64_e32 v[4:5], v[0:1], v[2:3]
	global_store_dwordx2 v[6:7], v[4:5], off
.LBB4_13:
	s_endpgm
	.section	.rodata,"a",@progbits
	.p2align	6, 0x0
	.amdhsa_kernel _Z7kernel5iiiiiiiiiiiiiddPKdS0_S0_S0_S0_PdS0_S0_S0_S0_S0_S0_S0_
		.amdhsa_group_segment_fixed_size 0
		.amdhsa_private_segment_fixed_size 908
		.amdhsa_kernarg_size 432
		.amdhsa_user_sgpr_count 6
		.amdhsa_user_sgpr_private_segment_buffer 1
		.amdhsa_user_sgpr_dispatch_ptr 0
		.amdhsa_user_sgpr_queue_ptr 0
		.amdhsa_user_sgpr_kernarg_segment_ptr 1
		.amdhsa_user_sgpr_dispatch_id 0
		.amdhsa_user_sgpr_flat_scratch_init 0
		.amdhsa_user_sgpr_kernarg_preload_length 0
		.amdhsa_user_sgpr_kernarg_preload_offset 0
		.amdhsa_user_sgpr_private_segment_size 0
		.amdhsa_uses_dynamic_stack 0
		.amdhsa_system_sgpr_private_segment_wavefront_offset 1
		.amdhsa_system_sgpr_workgroup_id_x 1
		.amdhsa_system_sgpr_workgroup_id_y 1
		.amdhsa_system_sgpr_workgroup_id_z 1
		.amdhsa_system_sgpr_workgroup_info 0
		.amdhsa_system_vgpr_workitem_id 2
		.amdhsa_next_free_vgpr 128
		.amdhsa_next_free_sgpr 48
		.amdhsa_accum_offset 128
		.amdhsa_reserve_vcc 1
		.amdhsa_reserve_flat_scratch 0
		.amdhsa_float_round_mode_32 0
		.amdhsa_float_round_mode_16_64 0
		.amdhsa_float_denorm_mode_32 3
		.amdhsa_float_denorm_mode_16_64 3
		.amdhsa_dx10_clamp 1
		.amdhsa_ieee_mode 1
		.amdhsa_fp16_overflow 0
		.amdhsa_tg_split 0
		.amdhsa_exception_fp_ieee_invalid_op 0
		.amdhsa_exception_fp_denorm_src 0
		.amdhsa_exception_fp_ieee_div_zero 0
		.amdhsa_exception_fp_ieee_overflow 0
		.amdhsa_exception_fp_ieee_underflow 0
		.amdhsa_exception_fp_ieee_inexact 0
		.amdhsa_exception_int_div_zero 0
	.end_amdhsa_kernel
	.text
.Lfunc_end4:
	.size	_Z7kernel5iiiiiiiiiiiiiddPKdS0_S0_S0_S0_PdS0_S0_S0_S0_S0_S0_S0_, .Lfunc_end4-_Z7kernel5iiiiiiiiiiiiiddPKdS0_S0_S0_S0_PdS0_S0_S0_S0_S0_S0_S0_
                                        ; -- End function
	.section	.AMDGPU.csdata,"",@progbits
; Kernel info:
; codeLenInByte = 17904
; NumSgprs: 52
; NumVgprs: 128
; NumAgprs: 0
; TotalNumVgprs: 128
; ScratchSize: 908
; MemoryBound: 0
; FloatMode: 240
; IeeeMode: 1
; LDSByteSize: 0 bytes/workgroup (compile time only)
; SGPRBlocks: 6
; VGPRBlocks: 15
; NumSGPRsForWavesPerEU: 52
; NumVGPRsForWavesPerEU: 128
; AccumOffset: 128
; Occupancy: 4
; WaveLimiterHint : 0
; COMPUTE_PGM_RSRC2:SCRATCH_EN: 1
; COMPUTE_PGM_RSRC2:USER_SGPR: 6
; COMPUTE_PGM_RSRC2:TRAP_HANDLER: 0
; COMPUTE_PGM_RSRC2:TGID_X_EN: 1
; COMPUTE_PGM_RSRC2:TGID_Y_EN: 1
; COMPUTE_PGM_RSRC2:TGID_Z_EN: 1
; COMPUTE_PGM_RSRC2:TIDIG_COMP_CNT: 2
; COMPUTE_PGM_RSRC3_GFX90A:ACCUM_OFFSET: 31
; COMPUTE_PGM_RSRC3_GFX90A:TG_SPLIT: 0
	.text
	.p2alignl 6, 3212836864
	.fill 256, 4, 3212836864
	.type	__hip_cuid_5b2e4514704d1ca9,@object ; @__hip_cuid_5b2e4514704d1ca9
	.section	.bss,"aw",@nobits
	.globl	__hip_cuid_5b2e4514704d1ca9
__hip_cuid_5b2e4514704d1ca9:
	.byte	0                               ; 0x0
	.size	__hip_cuid_5b2e4514704d1ca9, 1

	.ident	"AMD clang version 19.0.0git (https://github.com/RadeonOpenCompute/llvm-project roc-6.4.0 25133 c7fe45cf4b819c5991fe208aaa96edf142730f1d)"
	.section	".note.GNU-stack","",@progbits
	.addrsig
	.addrsig_sym __hip_cuid_5b2e4514704d1ca9
	.amdgpu_metadata
---
amdhsa.kernels:
  - .agpr_count:     0
    .args:
      - .offset:         0
        .size:           4
        .value_kind:     by_value
      - .offset:         4
        .size:           4
        .value_kind:     by_value
      - .offset:         8
        .size:           4
        .value_kind:     by_value
      - .offset:         12
        .size:           4
        .value_kind:     by_value
      - .offset:         16
        .size:           4
        .value_kind:     by_value
      - .offset:         20
        .size:           4
        .value_kind:     by_value
      - .offset:         24
        .size:           4
        .value_kind:     by_value
      - .offset:         28
        .size:           4
        .value_kind:     by_value
      - .offset:         32
        .size:           4
        .value_kind:     by_value
      - .offset:         36
        .size:           4
        .value_kind:     by_value
      - .offset:         40
        .size:           4
        .value_kind:     by_value
      - .offset:         44
        .size:           4
        .value_kind:     by_value
      - .offset:         48
        .size:           8
        .value_kind:     by_value
      - .offset:         56
        .size:           8
        .value_kind:     by_value
      - .actual_access:  read_only
        .address_space:  global
        .offset:         64
        .size:           8
        .value_kind:     global_buffer
      - .actual_access:  read_only
        .address_space:  global
        .offset:         72
        .size:           8
        .value_kind:     global_buffer
      - .actual_access:  read_only
        .address_space:  global
        .offset:         80
        .size:           8
        .value_kind:     global_buffer
      - .actual_access:  read_only
        .address_space:  global
        .offset:         88
        .size:           8
        .value_kind:     global_buffer
      - .actual_access:  read_only
        .address_space:  global
        .offset:         96
        .size:           8
        .value_kind:     global_buffer
      - .address_space:  global
        .offset:         104
        .size:           8
        .value_kind:     global_buffer
      - .actual_access:  read_only
        .address_space:  global
        .offset:         112
        .size:           8
        .value_kind:     global_buffer
      - .actual_access:  read_only
        .address_space:  global
        .offset:         120
        .size:           8
        .value_kind:     global_buffer
      - .actual_access:  read_only
        .address_space:  global
        .offset:         128
        .size:           8
        .value_kind:     global_buffer
      - .actual_access:  read_only
        .address_space:  global
        .offset:         136
        .size:           8
        .value_kind:     global_buffer
      - .actual_access:  read_only
        .address_space:  global
        .offset:         144
        .size:           8
        .value_kind:     global_buffer
      - .actual_access:  read_only
        .address_space:  global
        .offset:         152
        .size:           8
        .value_kind:     global_buffer
      - .actual_access:  read_only
        .address_space:  global
        .offset:         160
        .size:           8
        .value_kind:     global_buffer
      - .offset:         168
        .size:           4
        .value_kind:     hidden_block_count_x
      - .offset:         172
        .size:           4
        .value_kind:     hidden_block_count_y
      - .offset:         176
        .size:           4
        .value_kind:     hidden_block_count_z
      - .offset:         180
        .size:           2
        .value_kind:     hidden_group_size_x
      - .offset:         182
        .size:           2
        .value_kind:     hidden_group_size_y
      - .offset:         184
        .size:           2
        .value_kind:     hidden_group_size_z
      - .offset:         186
        .size:           2
        .value_kind:     hidden_remainder_x
      - .offset:         188
        .size:           2
        .value_kind:     hidden_remainder_y
      - .offset:         190
        .size:           2
        .value_kind:     hidden_remainder_z
      - .offset:         208
        .size:           8
        .value_kind:     hidden_global_offset_x
      - .offset:         216
        .size:           8
        .value_kind:     hidden_global_offset_y
      - .offset:         224
        .size:           8
        .value_kind:     hidden_global_offset_z
      - .offset:         232
        .size:           2
        .value_kind:     hidden_grid_dims
    .group_segment_fixed_size: 0
    .kernarg_segment_align: 8
    .kernarg_segment_size: 424
    .language:       OpenCL C
    .language_version:
      - 2
      - 0
    .max_flat_workgroup_size: 1024
    .name:           _Z7kernel1iiiiiiiiiiiiddPKdS0_S0_S0_S0_PdS0_S0_S0_S0_S0_S0_S0_
    .private_segment_fixed_size: 896
    .sgpr_count:     60
    .sgpr_spill_count: 0
    .symbol:         _Z7kernel1iiiiiiiiiiiiddPKdS0_S0_S0_S0_PdS0_S0_S0_S0_S0_S0_S0_.kd
    .uniform_work_group_size: 1
    .uses_dynamic_stack: false
    .vgpr_count:     128
    .vgpr_spill_count: 243
    .wavefront_size: 64
  - .agpr_count:     0
    .args:
      - .offset:         0
        .size:           4
        .value_kind:     by_value
      - .offset:         4
        .size:           4
        .value_kind:     by_value
      - .offset:         8
        .size:           4
        .value_kind:     by_value
      - .offset:         12
        .size:           4
        .value_kind:     by_value
      - .offset:         16
        .size:           4
        .value_kind:     by_value
      - .offset:         20
        .size:           4
        .value_kind:     by_value
      - .offset:         24
        .size:           4
        .value_kind:     by_value
      - .offset:         28
        .size:           4
        .value_kind:     by_value
      - .offset:         32
        .size:           4
        .value_kind:     by_value
      - .offset:         36
        .size:           4
        .value_kind:     by_value
      - .offset:         40
        .size:           4
        .value_kind:     by_value
      - .offset:         44
        .size:           4
        .value_kind:     by_value
      - .offset:         48
        .size:           8
        .value_kind:     by_value
      - .offset:         56
        .size:           8
        .value_kind:     by_value
      - .actual_access:  read_only
        .address_space:  global
        .offset:         64
        .size:           8
        .value_kind:     global_buffer
      - .actual_access:  read_only
        .address_space:  global
        .offset:         72
        .size:           8
        .value_kind:     global_buffer
      - .actual_access:  read_only
        .address_space:  global
        .offset:         80
        .size:           8
        .value_kind:     global_buffer
      - .actual_access:  read_only
        .address_space:  global
        .offset:         88
        .size:           8
        .value_kind:     global_buffer
      - .actual_access:  read_only
        .address_space:  global
        .offset:         96
        .size:           8
        .value_kind:     global_buffer
      - .address_space:  global
        .offset:         104
        .size:           8
        .value_kind:     global_buffer
      - .actual_access:  read_only
        .address_space:  global
        .offset:         112
        .size:           8
        .value_kind:     global_buffer
      - .actual_access:  read_only
        .address_space:  global
        .offset:         120
        .size:           8
        .value_kind:     global_buffer
      - .actual_access:  read_only
        .address_space:  global
        .offset:         128
        .size:           8
        .value_kind:     global_buffer
      - .actual_access:  read_only
        .address_space:  global
        .offset:         136
        .size:           8
        .value_kind:     global_buffer
      - .actual_access:  read_only
        .address_space:  global
        .offset:         144
        .size:           8
        .value_kind:     global_buffer
      - .actual_access:  read_only
        .address_space:  global
        .offset:         152
        .size:           8
        .value_kind:     global_buffer
      - .actual_access:  read_only
        .address_space:  global
        .offset:         160
        .size:           8
        .value_kind:     global_buffer
      - .offset:         168
        .size:           4
        .value_kind:     hidden_block_count_x
      - .offset:         172
        .size:           4
        .value_kind:     hidden_block_count_y
      - .offset:         176
        .size:           4
        .value_kind:     hidden_block_count_z
      - .offset:         180
        .size:           2
        .value_kind:     hidden_group_size_x
      - .offset:         182
        .size:           2
        .value_kind:     hidden_group_size_y
      - .offset:         184
        .size:           2
        .value_kind:     hidden_group_size_z
      - .offset:         186
        .size:           2
        .value_kind:     hidden_remainder_x
      - .offset:         188
        .size:           2
        .value_kind:     hidden_remainder_y
      - .offset:         190
        .size:           2
        .value_kind:     hidden_remainder_z
      - .offset:         208
        .size:           8
        .value_kind:     hidden_global_offset_x
      - .offset:         216
        .size:           8
        .value_kind:     hidden_global_offset_y
      - .offset:         224
        .size:           8
        .value_kind:     hidden_global_offset_z
      - .offset:         232
        .size:           2
        .value_kind:     hidden_grid_dims
    .group_segment_fixed_size: 0
    .kernarg_segment_align: 8
    .kernarg_segment_size: 424
    .language:       OpenCL C
    .language_version:
      - 2
      - 0
    .max_flat_workgroup_size: 1024
    .name:           _Z7kernel2iiiiiiiiiiiiddPKdS0_S0_S0_S0_PdS0_S0_S0_S0_S0_S0_S0_
    .private_segment_fixed_size: 836
    .sgpr_count:     36
    .sgpr_spill_count: 0
    .symbol:         _Z7kernel2iiiiiiiiiiiiddPKdS0_S0_S0_S0_PdS0_S0_S0_S0_S0_S0_S0_.kd
    .uniform_work_group_size: 1
    .uses_dynamic_stack: false
    .vgpr_count:     128
    .vgpr_spill_count: 217
    .wavefront_size: 64
  - .agpr_count:     0
    .args:
      - .offset:         0
        .size:           4
        .value_kind:     by_value
      - .offset:         4
        .size:           4
        .value_kind:     by_value
      - .offset:         8
        .size:           4
        .value_kind:     by_value
      - .offset:         12
        .size:           4
        .value_kind:     by_value
      - .offset:         16
        .size:           4
        .value_kind:     by_value
      - .offset:         20
        .size:           4
        .value_kind:     by_value
      - .offset:         24
        .size:           4
        .value_kind:     by_value
      - .offset:         28
        .size:           4
        .value_kind:     by_value
      - .offset:         32
        .size:           4
        .value_kind:     by_value
      - .offset:         36
        .size:           4
        .value_kind:     by_value
      - .offset:         40
        .size:           4
        .value_kind:     by_value
      - .offset:         44
        .size:           4
        .value_kind:     by_value
      - .offset:         48
        .size:           8
        .value_kind:     by_value
      - .offset:         56
        .size:           8
        .value_kind:     by_value
      - .actual_access:  read_only
        .address_space:  global
        .offset:         64
        .size:           8
        .value_kind:     global_buffer
      - .actual_access:  read_only
        .address_space:  global
        .offset:         72
        .size:           8
        .value_kind:     global_buffer
      - .actual_access:  read_only
        .address_space:  global
        .offset:         80
        .size:           8
        .value_kind:     global_buffer
      - .actual_access:  read_only
        .address_space:  global
        .offset:         88
        .size:           8
        .value_kind:     global_buffer
      - .actual_access:  read_only
        .address_space:  global
        .offset:         96
        .size:           8
        .value_kind:     global_buffer
      - .address_space:  global
        .offset:         104
        .size:           8
        .value_kind:     global_buffer
      - .actual_access:  read_only
        .address_space:  global
        .offset:         112
        .size:           8
        .value_kind:     global_buffer
      - .actual_access:  read_only
        .address_space:  global
        .offset:         120
        .size:           8
        .value_kind:     global_buffer
      - .actual_access:  read_only
        .address_space:  global
        .offset:         128
        .size:           8
        .value_kind:     global_buffer
      - .actual_access:  read_only
        .address_space:  global
        .offset:         136
        .size:           8
        .value_kind:     global_buffer
      - .actual_access:  read_only
        .address_space:  global
        .offset:         144
        .size:           8
        .value_kind:     global_buffer
      - .actual_access:  read_only
        .address_space:  global
        .offset:         152
        .size:           8
        .value_kind:     global_buffer
      - .actual_access:  read_only
        .address_space:  global
        .offset:         160
        .size:           8
        .value_kind:     global_buffer
      - .offset:         168
        .size:           4
        .value_kind:     hidden_block_count_x
      - .offset:         172
        .size:           4
        .value_kind:     hidden_block_count_y
      - .offset:         176
        .size:           4
        .value_kind:     hidden_block_count_z
      - .offset:         180
        .size:           2
        .value_kind:     hidden_group_size_x
      - .offset:         182
        .size:           2
        .value_kind:     hidden_group_size_y
      - .offset:         184
        .size:           2
        .value_kind:     hidden_group_size_z
      - .offset:         186
        .size:           2
        .value_kind:     hidden_remainder_x
      - .offset:         188
        .size:           2
        .value_kind:     hidden_remainder_y
      - .offset:         190
        .size:           2
        .value_kind:     hidden_remainder_z
      - .offset:         208
        .size:           8
        .value_kind:     hidden_global_offset_x
      - .offset:         216
        .size:           8
        .value_kind:     hidden_global_offset_y
      - .offset:         224
        .size:           8
        .value_kind:     hidden_global_offset_z
      - .offset:         232
        .size:           2
        .value_kind:     hidden_grid_dims
    .group_segment_fixed_size: 0
    .kernarg_segment_align: 8
    .kernarg_segment_size: 424
    .language:       OpenCL C
    .language_version:
      - 2
      - 0
    .max_flat_workgroup_size: 1024
    .name:           _Z7kernel3iiiiiiiiiiiiddPKdS0_S0_S0_S0_PdS0_S0_S0_S0_S0_S0_S0_
    .private_segment_fixed_size: 672
    .sgpr_count:     44
    .sgpr_spill_count: 0
    .symbol:         _Z7kernel3iiiiiiiiiiiiddPKdS0_S0_S0_S0_PdS0_S0_S0_S0_S0_S0_S0_.kd
    .uniform_work_group_size: 1
    .uses_dynamic_stack: false
    .vgpr_count:     128
    .vgpr_spill_count: 191
    .wavefront_size: 64
  - .agpr_count:     0
    .args:
      - .offset:         0
        .size:           4
        .value_kind:     by_value
      - .offset:         4
        .size:           4
        .value_kind:     by_value
      - .offset:         8
        .size:           4
        .value_kind:     by_value
      - .offset:         12
        .size:           4
        .value_kind:     by_value
      - .offset:         16
        .size:           4
        .value_kind:     by_value
      - .offset:         20
        .size:           4
        .value_kind:     by_value
      - .offset:         24
        .size:           4
        .value_kind:     by_value
      - .offset:         28
        .size:           4
        .value_kind:     by_value
      - .offset:         32
        .size:           4
        .value_kind:     by_value
      - .offset:         36
        .size:           4
        .value_kind:     by_value
      - .offset:         40
        .size:           4
        .value_kind:     by_value
      - .offset:         44
        .size:           4
        .value_kind:     by_value
      - .offset:         48
        .size:           8
        .value_kind:     by_value
      - .offset:         56
        .size:           8
        .value_kind:     by_value
      - .actual_access:  read_only
        .address_space:  global
        .offset:         64
        .size:           8
        .value_kind:     global_buffer
      - .actual_access:  read_only
        .address_space:  global
        .offset:         72
        .size:           8
        .value_kind:     global_buffer
      - .actual_access:  read_only
        .address_space:  global
        .offset:         80
        .size:           8
        .value_kind:     global_buffer
      - .actual_access:  read_only
        .address_space:  global
        .offset:         88
        .size:           8
        .value_kind:     global_buffer
      - .actual_access:  read_only
        .address_space:  global
        .offset:         96
        .size:           8
        .value_kind:     global_buffer
      - .address_space:  global
        .offset:         104
        .size:           8
        .value_kind:     global_buffer
      - .actual_access:  read_only
        .address_space:  global
        .offset:         112
        .size:           8
        .value_kind:     global_buffer
      - .actual_access:  read_only
        .address_space:  global
        .offset:         120
        .size:           8
        .value_kind:     global_buffer
      - .actual_access:  read_only
        .address_space:  global
        .offset:         128
        .size:           8
        .value_kind:     global_buffer
      - .actual_access:  read_only
        .address_space:  global
        .offset:         136
        .size:           8
        .value_kind:     global_buffer
      - .actual_access:  read_only
        .address_space:  global
        .offset:         144
        .size:           8
        .value_kind:     global_buffer
      - .actual_access:  read_only
        .address_space:  global
        .offset:         152
        .size:           8
        .value_kind:     global_buffer
      - .actual_access:  read_only
        .address_space:  global
        .offset:         160
        .size:           8
        .value_kind:     global_buffer
      - .offset:         168
        .size:           4
        .value_kind:     hidden_block_count_x
      - .offset:         172
        .size:           4
        .value_kind:     hidden_block_count_y
      - .offset:         176
        .size:           4
        .value_kind:     hidden_block_count_z
      - .offset:         180
        .size:           2
        .value_kind:     hidden_group_size_x
      - .offset:         182
        .size:           2
        .value_kind:     hidden_group_size_y
      - .offset:         184
        .size:           2
        .value_kind:     hidden_group_size_z
      - .offset:         186
        .size:           2
        .value_kind:     hidden_remainder_x
      - .offset:         188
        .size:           2
        .value_kind:     hidden_remainder_y
      - .offset:         190
        .size:           2
        .value_kind:     hidden_remainder_z
      - .offset:         208
        .size:           8
        .value_kind:     hidden_global_offset_x
      - .offset:         216
        .size:           8
        .value_kind:     hidden_global_offset_y
      - .offset:         224
        .size:           8
        .value_kind:     hidden_global_offset_z
      - .offset:         232
        .size:           2
        .value_kind:     hidden_grid_dims
    .group_segment_fixed_size: 0
    .kernarg_segment_align: 8
    .kernarg_segment_size: 424
    .language:       OpenCL C
    .language_version:
      - 2
      - 0
    .max_flat_workgroup_size: 1024
    .name:           _Z7kernel4iiiiiiiiiiiiddPKdS0_S0_S0_S0_PdS0_S0_S0_S0_S0_S0_S0_
    .private_segment_fixed_size: 284
    .sgpr_count:     44
    .sgpr_spill_count: 0
    .symbol:         _Z7kernel4iiiiiiiiiiiiddPKdS0_S0_S0_S0_PdS0_S0_S0_S0_S0_S0_S0_.kd
    .uniform_work_group_size: 1
    .uses_dynamic_stack: false
    .vgpr_count:     128
    .vgpr_spill_count: 70
    .wavefront_size: 64
  - .agpr_count:     0
    .args:
      - .offset:         0
        .size:           4
        .value_kind:     by_value
      - .offset:         4
        .size:           4
        .value_kind:     by_value
      - .offset:         8
        .size:           4
        .value_kind:     by_value
      - .offset:         12
        .size:           4
        .value_kind:     by_value
      - .offset:         16
        .size:           4
        .value_kind:     by_value
      - .offset:         20
        .size:           4
        .value_kind:     by_value
      - .offset:         24
        .size:           4
        .value_kind:     by_value
      - .offset:         28
        .size:           4
        .value_kind:     by_value
      - .offset:         32
        .size:           4
        .value_kind:     by_value
      - .offset:         36
        .size:           4
        .value_kind:     by_value
      - .offset:         40
        .size:           4
        .value_kind:     by_value
      - .offset:         44
        .size:           4
        .value_kind:     by_value
      - .offset:         48
        .size:           4
        .value_kind:     by_value
      - .offset:         56
        .size:           8
        .value_kind:     by_value
      - .offset:         64
        .size:           8
        .value_kind:     by_value
      - .actual_access:  read_only
        .address_space:  global
        .offset:         72
        .size:           8
        .value_kind:     global_buffer
      - .actual_access:  read_only
        .address_space:  global
        .offset:         80
        .size:           8
        .value_kind:     global_buffer
      - .actual_access:  read_only
        .address_space:  global
        .offset:         88
        .size:           8
        .value_kind:     global_buffer
      - .actual_access:  read_only
        .address_space:  global
        .offset:         96
        .size:           8
        .value_kind:     global_buffer
      - .actual_access:  read_only
        .address_space:  global
        .offset:         104
        .size:           8
        .value_kind:     global_buffer
      - .address_space:  global
        .offset:         112
        .size:           8
        .value_kind:     global_buffer
      - .actual_access:  read_only
        .address_space:  global
        .offset:         120
        .size:           8
        .value_kind:     global_buffer
      - .actual_access:  read_only
        .address_space:  global
        .offset:         128
        .size:           8
        .value_kind:     global_buffer
      - .actual_access:  read_only
        .address_space:  global
        .offset:         136
        .size:           8
        .value_kind:     global_buffer
      - .actual_access:  read_only
        .address_space:  global
        .offset:         144
        .size:           8
        .value_kind:     global_buffer
      - .actual_access:  read_only
        .address_space:  global
        .offset:         152
        .size:           8
        .value_kind:     global_buffer
      - .actual_access:  read_only
        .address_space:  global
        .offset:         160
        .size:           8
        .value_kind:     global_buffer
      - .actual_access:  read_only
        .address_space:  global
        .offset:         168
        .size:           8
        .value_kind:     global_buffer
      - .offset:         176
        .size:           4
        .value_kind:     hidden_block_count_x
      - .offset:         180
        .size:           4
        .value_kind:     hidden_block_count_y
      - .offset:         184
        .size:           4
        .value_kind:     hidden_block_count_z
      - .offset:         188
        .size:           2
        .value_kind:     hidden_group_size_x
      - .offset:         190
        .size:           2
        .value_kind:     hidden_group_size_y
      - .offset:         192
        .size:           2
        .value_kind:     hidden_group_size_z
      - .offset:         194
        .size:           2
        .value_kind:     hidden_remainder_x
      - .offset:         196
        .size:           2
        .value_kind:     hidden_remainder_y
      - .offset:         198
        .size:           2
        .value_kind:     hidden_remainder_z
      - .offset:         216
        .size:           8
        .value_kind:     hidden_global_offset_x
      - .offset:         224
        .size:           8
        .value_kind:     hidden_global_offset_y
      - .offset:         232
        .size:           8
        .value_kind:     hidden_global_offset_z
      - .offset:         240
        .size:           2
        .value_kind:     hidden_grid_dims
    .group_segment_fixed_size: 0
    .kernarg_segment_align: 8
    .kernarg_segment_size: 432
    .language:       OpenCL C
    .language_version:
      - 2
      - 0
    .max_flat_workgroup_size: 1024
    .name:           _Z7kernel5iiiiiiiiiiiiiddPKdS0_S0_S0_S0_PdS0_S0_S0_S0_S0_S0_S0_
    .private_segment_fixed_size: 908
    .sgpr_count:     52
    .sgpr_spill_count: 0
    .symbol:         _Z7kernel5iiiiiiiiiiiiiddPKdS0_S0_S0_S0_PdS0_S0_S0_S0_S0_S0_S0_.kd
    .uniform_work_group_size: 1
    .uses_dynamic_stack: false
    .vgpr_count:     128
    .vgpr_spill_count: 239
    .wavefront_size: 64
amdhsa.target:   amdgcn-amd-amdhsa--gfx90a
amdhsa.version:
  - 1
  - 2
...

	.end_amdgpu_metadata
